;; amdgpu-corpus repo=ROCm/rocFFT kind=compiled arch=gfx1030 opt=O3
	.text
	.amdgcn_target "amdgcn-amd-amdhsa--gfx1030"
	.amdhsa_code_object_version 6
	.protected	fft_rtc_back_len1768_factors_17_13_8_wgs_136_tpt_136_halfLds_dp_op_CI_CI_unitstride_sbrr_C2R_dirReg ; -- Begin function fft_rtc_back_len1768_factors_17_13_8_wgs_136_tpt_136_halfLds_dp_op_CI_CI_unitstride_sbrr_C2R_dirReg
	.globl	fft_rtc_back_len1768_factors_17_13_8_wgs_136_tpt_136_halfLds_dp_op_CI_CI_unitstride_sbrr_C2R_dirReg
	.p2align	8
	.type	fft_rtc_back_len1768_factors_17_13_8_wgs_136_tpt_136_halfLds_dp_op_CI_CI_unitstride_sbrr_C2R_dirReg,@function
fft_rtc_back_len1768_factors_17_13_8_wgs_136_tpt_136_halfLds_dp_op_CI_CI_unitstride_sbrr_C2R_dirReg: ; @fft_rtc_back_len1768_factors_17_13_8_wgs_136_tpt_136_halfLds_dp_op_CI_CI_unitstride_sbrr_C2R_dirReg
; %bb.0:
	s_clause 0x2
	s_load_dwordx4 s[12:15], s[4:5], 0x0
	s_load_dwordx4 s[8:11], s[4:5], 0x58
	;; [unrolled: 1-line block ×3, first 2 shown]
	v_mul_u32_u24_e32 v1, 0x1e2, v0
	v_mov_b32_e32 v3, 0
	v_add_nc_u32_sdwa v5, s6, v1 dst_sel:DWORD dst_unused:UNUSED_PAD src0_sel:DWORD src1_sel:WORD_1
	v_mov_b32_e32 v1, 0
	v_mov_b32_e32 v6, v3
	v_mov_b32_e32 v2, 0
	s_waitcnt lgkmcnt(0)
	v_cmp_lt_u64_e64 s0, s[14:15], 2
	s_and_b32 vcc_lo, exec_lo, s0
	s_cbranch_vccnz .LBB0_8
; %bb.1:
	s_load_dwordx2 s[0:1], s[4:5], 0x10
	v_mov_b32_e32 v1, 0
	v_mov_b32_e32 v2, 0
	s_add_u32 s2, s18, 8
	s_addc_u32 s3, s19, 0
	s_add_u32 s6, s16, 8
	s_addc_u32 s7, s17, 0
	v_mov_b32_e32 v81, v2
	v_mov_b32_e32 v80, v1
	s_mov_b64 s[22:23], 1
	s_waitcnt lgkmcnt(0)
	s_add_u32 s20, s0, 8
	s_addc_u32 s21, s1, 0
.LBB0_2:                                ; =>This Inner Loop Header: Depth=1
	s_load_dwordx2 s[24:25], s[20:21], 0x0
                                        ; implicit-def: $vgpr84_vgpr85
	s_mov_b32 s0, exec_lo
	s_waitcnt lgkmcnt(0)
	v_or_b32_e32 v4, s25, v6
	v_cmpx_ne_u64_e32 0, v[3:4]
	s_xor_b32 s1, exec_lo, s0
	s_cbranch_execz .LBB0_4
; %bb.3:                                ;   in Loop: Header=BB0_2 Depth=1
	v_cvt_f32_u32_e32 v4, s24
	v_cvt_f32_u32_e32 v7, s25
	s_sub_u32 s0, 0, s24
	s_subb_u32 s26, 0, s25
	v_fmac_f32_e32 v4, 0x4f800000, v7
	v_rcp_f32_e32 v4, v4
	v_mul_f32_e32 v4, 0x5f7ffffc, v4
	v_mul_f32_e32 v7, 0x2f800000, v4
	v_trunc_f32_e32 v7, v7
	v_fmac_f32_e32 v4, 0xcf800000, v7
	v_cvt_u32_f32_e32 v7, v7
	v_cvt_u32_f32_e32 v4, v4
	v_mul_lo_u32 v8, s0, v7
	v_mul_hi_u32 v9, s0, v4
	v_mul_lo_u32 v10, s26, v4
	v_add_nc_u32_e32 v8, v9, v8
	v_mul_lo_u32 v9, s0, v4
	v_add_nc_u32_e32 v8, v8, v10
	v_mul_hi_u32 v10, v4, v9
	v_mul_lo_u32 v11, v4, v8
	v_mul_hi_u32 v12, v4, v8
	v_mul_hi_u32 v13, v7, v9
	v_mul_lo_u32 v9, v7, v9
	v_mul_hi_u32 v14, v7, v8
	v_mul_lo_u32 v8, v7, v8
	v_add_co_u32 v10, vcc_lo, v10, v11
	v_add_co_ci_u32_e32 v11, vcc_lo, 0, v12, vcc_lo
	v_add_co_u32 v9, vcc_lo, v10, v9
	v_add_co_ci_u32_e32 v9, vcc_lo, v11, v13, vcc_lo
	v_add_co_ci_u32_e32 v10, vcc_lo, 0, v14, vcc_lo
	v_add_co_u32 v8, vcc_lo, v9, v8
	v_add_co_ci_u32_e32 v9, vcc_lo, 0, v10, vcc_lo
	v_add_co_u32 v4, vcc_lo, v4, v8
	v_add_co_ci_u32_e32 v7, vcc_lo, v7, v9, vcc_lo
	v_mul_hi_u32 v8, s0, v4
	v_mul_lo_u32 v10, s26, v4
	v_mul_lo_u32 v9, s0, v7
	v_add_nc_u32_e32 v8, v8, v9
	v_mul_lo_u32 v9, s0, v4
	v_add_nc_u32_e32 v8, v8, v10
	v_mul_hi_u32 v10, v4, v9
	v_mul_lo_u32 v11, v4, v8
	v_mul_hi_u32 v12, v4, v8
	v_mul_hi_u32 v13, v7, v9
	v_mul_lo_u32 v9, v7, v9
	v_mul_hi_u32 v14, v7, v8
	v_mul_lo_u32 v8, v7, v8
	v_add_co_u32 v10, vcc_lo, v10, v11
	v_add_co_ci_u32_e32 v11, vcc_lo, 0, v12, vcc_lo
	v_add_co_u32 v9, vcc_lo, v10, v9
	v_add_co_ci_u32_e32 v9, vcc_lo, v11, v13, vcc_lo
	v_add_co_ci_u32_e32 v10, vcc_lo, 0, v14, vcc_lo
	v_add_co_u32 v8, vcc_lo, v9, v8
	v_add_co_ci_u32_e32 v9, vcc_lo, 0, v10, vcc_lo
	v_add_co_u32 v4, vcc_lo, v4, v8
	v_add_co_ci_u32_e32 v11, vcc_lo, v7, v9, vcc_lo
	v_mul_hi_u32 v13, v5, v4
	v_mad_u64_u32 v[9:10], null, v6, v4, 0
	v_mad_u64_u32 v[7:8], null, v5, v11, 0
	;; [unrolled: 1-line block ×3, first 2 shown]
	v_add_co_u32 v4, vcc_lo, v13, v7
	v_add_co_ci_u32_e32 v7, vcc_lo, 0, v8, vcc_lo
	v_add_co_u32 v4, vcc_lo, v4, v9
	v_add_co_ci_u32_e32 v4, vcc_lo, v7, v10, vcc_lo
	v_add_co_ci_u32_e32 v7, vcc_lo, 0, v12, vcc_lo
	v_add_co_u32 v4, vcc_lo, v4, v11
	v_add_co_ci_u32_e32 v9, vcc_lo, 0, v7, vcc_lo
	v_mul_lo_u32 v10, s25, v4
	v_mad_u64_u32 v[7:8], null, s24, v4, 0
	v_mul_lo_u32 v11, s24, v9
	v_sub_co_u32 v7, vcc_lo, v5, v7
	v_add3_u32 v8, v8, v11, v10
	v_sub_nc_u32_e32 v10, v6, v8
	v_subrev_co_ci_u32_e64 v10, s0, s25, v10, vcc_lo
	v_add_co_u32 v11, s0, v4, 2
	v_add_co_ci_u32_e64 v12, s0, 0, v9, s0
	v_sub_co_u32 v13, s0, v7, s24
	v_sub_co_ci_u32_e32 v8, vcc_lo, v6, v8, vcc_lo
	v_subrev_co_ci_u32_e64 v10, s0, 0, v10, s0
	v_cmp_le_u32_e32 vcc_lo, s24, v13
	v_cmp_eq_u32_e64 s0, s25, v8
	v_cndmask_b32_e64 v13, 0, -1, vcc_lo
	v_cmp_le_u32_e32 vcc_lo, s25, v10
	v_cndmask_b32_e64 v14, 0, -1, vcc_lo
	v_cmp_le_u32_e32 vcc_lo, s24, v7
	;; [unrolled: 2-line block ×3, first 2 shown]
	v_cndmask_b32_e64 v15, 0, -1, vcc_lo
	v_cmp_eq_u32_e32 vcc_lo, s25, v10
	v_cndmask_b32_e64 v7, v15, v7, s0
	v_cndmask_b32_e32 v10, v14, v13, vcc_lo
	v_add_co_u32 v13, vcc_lo, v4, 1
	v_add_co_ci_u32_e32 v14, vcc_lo, 0, v9, vcc_lo
	v_cmp_ne_u32_e32 vcc_lo, 0, v10
	v_cndmask_b32_e32 v8, v14, v12, vcc_lo
	v_cndmask_b32_e32 v10, v13, v11, vcc_lo
	v_cmp_ne_u32_e32 vcc_lo, 0, v7
	v_cndmask_b32_e32 v85, v9, v8, vcc_lo
	v_cndmask_b32_e32 v84, v4, v10, vcc_lo
.LBB0_4:                                ;   in Loop: Header=BB0_2 Depth=1
	s_andn2_saveexec_b32 s0, s1
	s_cbranch_execz .LBB0_6
; %bb.5:                                ;   in Loop: Header=BB0_2 Depth=1
	v_cvt_f32_u32_e32 v4, s24
	s_sub_i32 s1, 0, s24
	v_mov_b32_e32 v85, v3
	v_rcp_iflag_f32_e32 v4, v4
	v_mul_f32_e32 v4, 0x4f7ffffe, v4
	v_cvt_u32_f32_e32 v4, v4
	v_mul_lo_u32 v7, s1, v4
	v_mul_hi_u32 v7, v4, v7
	v_add_nc_u32_e32 v4, v4, v7
	v_mul_hi_u32 v4, v5, v4
	v_mul_lo_u32 v7, v4, s24
	v_add_nc_u32_e32 v8, 1, v4
	v_sub_nc_u32_e32 v7, v5, v7
	v_subrev_nc_u32_e32 v9, s24, v7
	v_cmp_le_u32_e32 vcc_lo, s24, v7
	v_cndmask_b32_e32 v7, v7, v9, vcc_lo
	v_cndmask_b32_e32 v4, v4, v8, vcc_lo
	v_cmp_le_u32_e32 vcc_lo, s24, v7
	v_add_nc_u32_e32 v8, 1, v4
	v_cndmask_b32_e32 v84, v4, v8, vcc_lo
.LBB0_6:                                ;   in Loop: Header=BB0_2 Depth=1
	s_or_b32 exec_lo, exec_lo, s0
	v_mul_lo_u32 v4, v85, s24
	v_mul_lo_u32 v9, v84, s25
	s_load_dwordx2 s[0:1], s[6:7], 0x0
	v_mad_u64_u32 v[7:8], null, v84, s24, 0
	s_load_dwordx2 s[24:25], s[2:3], 0x0
	s_add_u32 s22, s22, 1
	s_addc_u32 s23, s23, 0
	s_add_u32 s2, s2, 8
	s_addc_u32 s3, s3, 0
	s_add_u32 s6, s6, 8
	v_add3_u32 v4, v8, v9, v4
	v_sub_co_u32 v5, vcc_lo, v5, v7
	s_addc_u32 s7, s7, 0
	s_add_u32 s20, s20, 8
	v_sub_co_ci_u32_e32 v4, vcc_lo, v6, v4, vcc_lo
	s_addc_u32 s21, s21, 0
	s_waitcnt lgkmcnt(0)
	v_mul_lo_u32 v6, s0, v4
	v_mul_lo_u32 v7, s1, v5
	v_mad_u64_u32 v[1:2], null, s0, v5, v[1:2]
	v_mul_lo_u32 v4, s24, v4
	v_mul_lo_u32 v8, s25, v5
	v_mad_u64_u32 v[80:81], null, s24, v5, v[80:81]
	v_cmp_ge_u64_e64 s0, s[22:23], s[14:15]
	v_add3_u32 v2, v7, v2, v6
	v_add3_u32 v81, v8, v81, v4
	s_and_b32 vcc_lo, exec_lo, s0
	s_cbranch_vccnz .LBB0_9
; %bb.7:                                ;   in Loop: Header=BB0_2 Depth=1
	v_mov_b32_e32 v5, v84
	v_mov_b32_e32 v6, v85
	s_branch .LBB0_2
.LBB0_8:
	v_mov_b32_e32 v81, v2
	v_mov_b32_e32 v85, v6
	;; [unrolled: 1-line block ×4, first 2 shown]
.LBB0_9:
	s_load_dwordx2 s[0:1], s[4:5], 0x28
	v_mul_hi_u32 v3, 0x1e1e1e2, v0
	s_lshl_b64 s[4:5], s[14:15], 3
                                        ; implicit-def: $vgpr82
	s_add_u32 s2, s18, s4
	s_addc_u32 s3, s19, s5
	s_waitcnt lgkmcnt(0)
	v_cmp_gt_u64_e32 vcc_lo, s[0:1], v[84:85]
	v_cmp_le_u64_e64 s0, s[0:1], v[84:85]
	s_and_saveexec_b32 s1, s0
	s_xor_b32 s0, exec_lo, s1
; %bb.10:
	v_mul_u32_u24_e32 v1, 0x88, v3
                                        ; implicit-def: $vgpr3
	v_sub_nc_u32_e32 v82, v0, v1
                                        ; implicit-def: $vgpr0
                                        ; implicit-def: $vgpr1_vgpr2
; %bb.11:
	s_or_saveexec_b32 s1, s0
	s_load_dwordx2 s[2:3], s[2:3], 0x0
	s_xor_b32 exec_lo, exec_lo, s1
	s_cbranch_execz .LBB0_15
; %bb.12:
	s_add_u32 s4, s16, s4
	s_addc_u32 s5, s17, s5
	v_lshlrev_b64 v[1:2], 4, v[1:2]
	s_load_dwordx2 s[4:5], s[4:5], 0x0
	s_waitcnt lgkmcnt(0)
	v_mul_lo_u32 v6, s5, v84
	v_mul_lo_u32 v7, s4, v85
	v_mad_u64_u32 v[4:5], null, s4, v84, 0
	s_mov_b32 s4, exec_lo
	v_add3_u32 v5, v5, v7, v6
	v_mul_u32_u24_e32 v6, 0x88, v3
	v_lshlrev_b64 v[3:4], 4, v[4:5]
	v_sub_nc_u32_e32 v82, v0, v6
	v_lshlrev_b32_e32 v54, 4, v82
	v_add_co_u32 v0, s0, s8, v3
	v_add_co_ci_u32_e64 v3, s0, s9, v4, s0
	v_add_co_u32 v0, s0, v0, v1
	v_add_co_ci_u32_e64 v1, s0, v3, v2, s0
	;; [unrolled: 2-line block ×3, first 2 shown]
	v_add_nc_u32_e32 v54, 0, v54
	v_add_co_u32 v6, s0, 0x800, v34
	v_add_co_ci_u32_e64 v7, s0, 0, v35, s0
	v_add_co_u32 v10, s0, 0x1000, v34
	v_add_co_ci_u32_e64 v11, s0, 0, v35, s0
	;; [unrolled: 2-line block ×12, first 2 shown]
	s_clause 0xc
	global_load_dwordx4 v[2:5], v[34:35], off
	global_load_dwordx4 v[6:9], v[6:7], off offset:128
	global_load_dwordx4 v[10:13], v[10:11], off offset:256
	;; [unrolled: 1-line block ×12, first 2 shown]
	s_waitcnt vmcnt(12)
	ds_write_b128 v54, v[2:5]
	s_waitcnt vmcnt(11)
	ds_write_b128 v54, v[6:9] offset:2176
	s_waitcnt vmcnt(10)
	ds_write_b128 v54, v[10:13] offset:4352
	;; [unrolled: 2-line block ×12, first 2 shown]
	v_cmpx_eq_u32_e32 0x87, v82
	s_cbranch_execz .LBB0_14
; %bb.13:
	v_add_co_u32 v0, s0, 0x6800, v0
	v_add_co_ci_u32_e64 v1, s0, 0, v1, s0
	v_mov_b32_e32 v4, 0
	v_mov_b32_e32 v82, 0x87
	global_load_dwordx4 v[0:3], v[0:1], off offset:1664
	s_waitcnt vmcnt(0)
	ds_write_b128 v4, v[0:3] offset:28288
.LBB0_14:
	s_or_b32 exec_lo, exec_lo, s4
.LBB0_15:
	s_or_b32 exec_lo, exec_lo, s1
	v_lshlrev_b32_e32 v0, 4, v82
	s_waitcnt lgkmcnt(0)
	s_barrier
	buffer_gl0_inv
	s_add_u32 s1, s12, 0x6d70
	v_add_nc_u32_e32 v247, 0, v0
	v_sub_nc_u32_e32 v8, 0, v0
	s_addc_u32 s4, s13, 0
	s_mov_b32 s5, exec_lo
	ds_read_b64 v[4:5], v247
	ds_read_b64 v[6:7], v8 offset:28288
	s_waitcnt lgkmcnt(0)
	v_add_f64 v[0:1], v[4:5], v[6:7]
	v_add_f64 v[2:3], v[4:5], -v[6:7]
	v_cmpx_ne_u32_e32 0, v82
	s_xor_b32 s5, exec_lo, s5
	s_cbranch_execz .LBB0_17
; %bb.16:
	v_mov_b32_e32 v83, 0
	v_add_f64 v[13:14], v[4:5], v[6:7]
	v_add_f64 v[15:16], v[4:5], -v[6:7]
	v_lshlrev_b64 v[0:1], 4, v[82:83]
	v_add_co_u32 v0, s0, s1, v0
	v_add_co_ci_u32_e64 v1, s0, s4, v1, s0
	global_load_dwordx4 v[9:12], v[0:1], off
	ds_read_b64 v[0:1], v8 offset:28296
	ds_read_b64 v[2:3], v247 offset:8
	s_waitcnt lgkmcnt(0)
	v_add_f64 v[4:5], v[0:1], v[2:3]
	v_add_f64 v[0:1], v[2:3], -v[0:1]
	s_waitcnt vmcnt(0)
	v_fma_f64 v[2:3], v[15:16], v[11:12], v[13:14]
	v_fma_f64 v[6:7], -v[15:16], v[11:12], v[13:14]
	v_fma_f64 v[13:14], v[4:5], v[11:12], -v[0:1]
	v_fma_f64 v[11:12], v[4:5], v[11:12], v[0:1]
	v_fma_f64 v[0:1], -v[4:5], v[9:10], v[2:3]
	v_fma_f64 v[4:5], v[4:5], v[9:10], v[6:7]
	v_fma_f64 v[6:7], v[15:16], v[9:10], v[13:14]
	;; [unrolled: 1-line block ×3, first 2 shown]
	ds_write_b128 v8, v[4:7] offset:28288
.LBB0_17:
	s_andn2_saveexec_b32 s0, s5
	s_cbranch_execz .LBB0_19
; %bb.18:
	v_mov_b32_e32 v9, 0
	ds_read_b128 v[4:7], v9 offset:14144
	s_waitcnt lgkmcnt(0)
	v_add_f64 v[4:5], v[4:5], v[4:5]
	v_mul_f64 v[6:7], v[6:7], -2.0
	ds_write_b128 v9, v[4:7] offset:14144
.LBB0_19:
	s_or_b32 exec_lo, exec_lo, s0
	v_add_nc_u32_e32 v86, 0x88, v82
	v_mov_b32_e32 v87, 0
	v_add_nc_u32_e32 v9, 0x110, v82
	v_add_nc_u32_e32 v13, 0x198, v82
	;; [unrolled: 1-line block ×3, first 2 shown]
	ds_write_b128 v247, v[0:3]
	v_lshlrev_b64 v[4:5], 4, v[86:87]
	v_mov_b32_e32 v10, v87
	v_mov_b32_e32 v14, v87
	v_mov_b32_e32 v18, v87
	s_mov_b32 s5, exec_lo
	v_add_co_u32 v4, s0, s1, v4
	v_add_co_ci_u32_e64 v5, s0, s4, v5, s0
	v_lshlrev_b64 v[9:10], 4, v[9:10]
	v_lshlrev_b64 v[13:14], 4, v[13:14]
	v_lshlrev_b64 v[17:18], 4, v[17:18]
	global_load_dwordx4 v[4:7], v[4:5], off
	v_add_co_u32 v9, s0, s1, v9
	v_add_co_ci_u32_e64 v10, s0, s4, v10, s0
	v_add_co_u32 v13, s0, s1, v13
	v_add_co_ci_u32_e64 v14, s0, s4, v14, s0
	global_load_dwordx4 v[9:12], v[9:10], off
	v_add_co_u32 v21, s0, s1, v17
	global_load_dwordx4 v[13:16], v[13:14], off
	v_add_co_ci_u32_e64 v22, s0, s4, v18, s0
	ds_read_b128 v[0:3], v247 offset:2176
	ds_read_b128 v[17:20], v8 offset:26112
	global_load_dwordx4 v[21:24], v[21:22], off
	s_waitcnt lgkmcnt(0)
	v_add_f64 v[25:26], v[0:1], v[17:18]
	v_add_f64 v[27:28], v[19:20], v[2:3]
	v_add_f64 v[29:30], v[0:1], -v[17:18]
	v_add_f64 v[0:1], v[2:3], -v[19:20]
	s_waitcnt vmcnt(3)
	v_fma_f64 v[2:3], v[29:30], v[6:7], v[25:26]
	v_fma_f64 v[17:18], v[27:28], v[6:7], v[0:1]
	v_fma_f64 v[19:20], -v[29:30], v[6:7], v[25:26]
	v_fma_f64 v[6:7], v[27:28], v[6:7], -v[0:1]
	v_fma_f64 v[0:1], -v[27:28], v[4:5], v[2:3]
	v_fma_f64 v[2:3], v[29:30], v[4:5], v[17:18]
	v_fma_f64 v[17:18], v[27:28], v[4:5], v[19:20]
	;; [unrolled: 1-line block ×3, first 2 shown]
	v_add_nc_u32_e32 v4, 0x2a8, v82
	v_mov_b32_e32 v5, v87
	ds_write_b128 v247, v[0:3] offset:2176
	ds_write_b128 v8, v[17:20] offset:26112
	v_lshlrev_b64 v[4:5], 4, v[4:5]
	v_add_co_u32 v25, s0, s1, v4
	v_add_co_ci_u32_e64 v26, s0, s4, v5, s0
	ds_read_b128 v[0:3], v247 offset:4352
	ds_read_b128 v[4:7], v8 offset:23936
	global_load_dwordx4 v[17:20], v[25:26], off
	s_waitcnt lgkmcnt(0)
	v_add_f64 v[25:26], v[0:1], v[4:5]
	v_add_f64 v[27:28], v[6:7], v[2:3]
	v_add_f64 v[29:30], v[0:1], -v[4:5]
	v_add_f64 v[0:1], v[2:3], -v[6:7]
	s_waitcnt vmcnt(3)
	v_fma_f64 v[2:3], v[29:30], v[11:12], v[25:26]
	v_fma_f64 v[4:5], v[27:28], v[11:12], v[0:1]
	v_fma_f64 v[6:7], -v[29:30], v[11:12], v[25:26]
	v_fma_f64 v[11:12], v[27:28], v[11:12], -v[0:1]
	v_fma_f64 v[0:1], -v[27:28], v[9:10], v[2:3]
	v_fma_f64 v[2:3], v[29:30], v[9:10], v[4:5]
	v_fma_f64 v[4:5], v[27:28], v[9:10], v[6:7]
	v_fma_f64 v[6:7], v[29:30], v[9:10], v[11:12]
	ds_write_b128 v247, v[0:3] offset:4352
	ds_write_b128 v8, v[4:7] offset:23936
	ds_read_b128 v[0:3], v247 offset:6528
	ds_read_b128 v[4:7], v8 offset:21760
	s_waitcnt lgkmcnt(0)
	v_add_f64 v[9:10], v[0:1], v[4:5]
	v_add_f64 v[11:12], v[6:7], v[2:3]
	v_add_f64 v[25:26], v[0:1], -v[4:5]
	v_add_f64 v[0:1], v[2:3], -v[6:7]
	s_waitcnt vmcnt(2)
	v_fma_f64 v[2:3], v[25:26], v[15:16], v[9:10]
	v_fma_f64 v[4:5], v[11:12], v[15:16], v[0:1]
	v_fma_f64 v[6:7], -v[25:26], v[15:16], v[9:10]
	v_fma_f64 v[9:10], v[11:12], v[15:16], -v[0:1]
	v_fma_f64 v[0:1], -v[11:12], v[13:14], v[2:3]
	v_fma_f64 v[2:3], v[25:26], v[13:14], v[4:5]
	v_fma_f64 v[4:5], v[11:12], v[13:14], v[6:7]
	v_fma_f64 v[6:7], v[25:26], v[13:14], v[9:10]
	ds_write_b128 v247, v[0:3] offset:6528
	ds_write_b128 v8, v[4:7] offset:21760
	ds_read_b128 v[0:3], v247 offset:8704
	ds_read_b128 v[4:7], v8 offset:19584
	;; [unrolled: 18-line block ×3, first 2 shown]
	s_waitcnt lgkmcnt(0)
	v_add_f64 v[9:10], v[0:1], v[4:5]
	v_add_f64 v[11:12], v[6:7], v[2:3]
	v_add_f64 v[13:14], v[0:1], -v[4:5]
	v_add_f64 v[0:1], v[2:3], -v[6:7]
	s_waitcnt vmcnt(0)
	v_fma_f64 v[2:3], v[13:14], v[19:20], v[9:10]
	v_fma_f64 v[4:5], v[11:12], v[19:20], v[0:1]
	v_fma_f64 v[6:7], -v[13:14], v[19:20], v[9:10]
	v_fma_f64 v[9:10], v[11:12], v[19:20], -v[0:1]
	v_fma_f64 v[0:1], -v[11:12], v[17:18], v[2:3]
	v_fma_f64 v[2:3], v[13:14], v[17:18], v[4:5]
	v_fma_f64 v[4:5], v[11:12], v[17:18], v[6:7]
	;; [unrolled: 1-line block ×3, first 2 shown]
	ds_write_b128 v247, v[0:3] offset:10880
	ds_write_b128 v8, v[4:7] offset:17408
	v_cmpx_gt_u32_e32 0x44, v82
	s_cbranch_execz .LBB0_21
; %bb.20:
	v_add_nc_u32_e32 v0, 0x330, v82
	v_mov_b32_e32 v1, v87
	v_lshlrev_b64 v[0:1], 4, v[0:1]
	v_add_co_u32 v0, s0, s1, v0
	v_add_co_ci_u32_e64 v1, s0, s4, v1, s0
	global_load_dwordx4 v[0:3], v[0:1], off
	ds_read_b128 v[4:7], v247 offset:13056
	ds_read_b128 v[9:12], v8 offset:15232
	s_waitcnt lgkmcnt(0)
	v_add_f64 v[13:14], v[4:5], v[9:10]
	v_add_f64 v[15:16], v[11:12], v[6:7]
	v_add_f64 v[17:18], v[4:5], -v[9:10]
	v_add_f64 v[4:5], v[6:7], -v[11:12]
	s_waitcnt vmcnt(0)
	v_fma_f64 v[6:7], v[17:18], v[2:3], v[13:14]
	v_fma_f64 v[9:10], v[15:16], v[2:3], v[4:5]
	v_fma_f64 v[11:12], -v[17:18], v[2:3], v[13:14]
	v_fma_f64 v[13:14], v[15:16], v[2:3], -v[4:5]
	v_fma_f64 v[2:3], -v[15:16], v[0:1], v[6:7]
	v_fma_f64 v[4:5], v[17:18], v[0:1], v[9:10]
	v_fma_f64 v[9:10], v[15:16], v[0:1], v[11:12]
	;; [unrolled: 1-line block ×3, first 2 shown]
	ds_write_b128 v247, v[2:5] offset:13056
	ds_write_b128 v8, v[9:12] offset:15232
.LBB0_21:
	s_or_b32 exec_lo, exec_lo, s5
	s_waitcnt lgkmcnt(0)
	s_barrier
	buffer_gl0_inv
	s_barrier
	buffer_gl0_inv
	ds_read_b128 v[36:39], v247 offset:1664
	ds_read_b128 v[12:15], v247 offset:26624
	;; [unrolled: 1-line block ×4, first 2 shown]
	ds_read_b128 v[20:23], v247
	s_mov_b32 s16, 0x2a9d6da3
	s_mov_b32 s17, 0xbfe58eea
	ds_read_b128 v[48:51], v247 offset:4992
	ds_read_b128 v[24:27], v247 offset:23296
	s_mov_b32 s4, 0x75d4884
	s_mov_b32 s14, 0xeb564b22
	s_mov_b32 s5, 0x3fe7a5f6
	s_mov_b32 s15, 0xbfefdd0d
	s_mov_b32 s6, 0x3259b75e
	s_mov_b32 s26, 0x6c9a05f6
	s_mov_b32 s7, 0x3fb79ee6
	s_mov_b32 s27, 0xbfe9895b
	ds_read_b128 v[28:31], v247 offset:21632
	ds_read_b128 v[60:63], v247 offset:6656
	;; [unrolled: 1-line block ×3, first 2 shown]
	s_mov_b32 s8, 0x6ed5f1bb
	s_mov_b32 s9, 0xbfe348c8
	;; [unrolled: 1-line block ×3, first 2 shown]
	s_waitcnt lgkmcnt(8)
	v_add_f64 v[147:148], v[38:39], -v[14:15]
	v_add_f64 v[149:150], v[38:39], v[14:15]
	v_add_f64 v[145:146], v[36:37], v[12:13]
	s_waitcnt lgkmcnt(6)
	v_add_f64 v[91:92], v[46:47], -v[18:19]
	v_add_f64 v[155:156], v[36:37], -v[12:13]
	v_add_f64 v[87:88], v[46:47], v[18:19]
	v_add_f64 v[89:90], v[44:45], v[16:17]
	s_waitcnt lgkmcnt(3)
	v_add_f64 v[103:104], v[50:51], -v[26:27]
	v_add_f64 v[97:98], v[44:45], -v[16:17]
	v_add_f64 v[93:94], v[48:49], v[24:25]
	v_add_f64 v[95:96], v[50:51], v[26:27]
	v_add_f64 v[105:106], v[48:49], -v[24:25]
	s_mov_b32 s23, 0xbfc7851a
	ds_read_b128 v[32:35], v247 offset:19968
	s_mov_b32 s18, 0x7faef3
	s_waitcnt lgkmcnt(2)
	v_add_f64 v[111:112], v[62:63], -v[30:31]
	v_add_f64 v[99:100], v[60:61], v[28:29]
	v_add_f64 v[101:102], v[62:63], v[30:31]
	s_mov_b32 s19, 0xbfef7484
	v_add_f64 v[117:118], v[60:61], -v[28:29]
	s_mov_b32 s36, 0x4363dd80
	s_mov_b32 s37, 0x3fe0d888
	v_mul_f64 v[161:162], v[147:148], s[16:17]
	v_mul_f64 v[163:164], v[149:150], s[4:5]
	ds_read_b128 v[40:43], v247 offset:18304
	ds_read_b128 v[72:75], v247 offset:9984
	;; [unrolled: 1-line block ×3, first 2 shown]
	v_mul_f64 v[119:120], v[91:92], s[14:15]
	s_mov_b32 s20, 0x910ea3b9
	v_mul_f64 v[121:122], v[87:88], s[6:7]
	s_mov_b32 s21, 0xbfeb34fa
	;; [unrolled: 2-line block ×3, first 2 shown]
	s_mov_b32 s35, 0x3feec746
	v_mul_f64 v[141:142], v[95:96], s[8:9]
	s_waitcnt lgkmcnt(3)
	v_add_f64 v[127:128], v[58:59], -v[34:35]
	v_add_f64 v[107:108], v[56:57], v[32:33]
	v_add_f64 v[109:110], v[58:59], v[34:35]
	v_add_f64 v[129:130], v[56:57], -v[32:33]
	v_mul_f64 v[159:160], v[111:112], s[22:23]
	ds_read_b128 v[52:55], v247 offset:16640
	v_mul_f64 v[165:166], v[101:102], s[18:19]
	s_mov_b32 s24, 0xc61f0d01
	s_mov_b32 s25, 0xbfd183b1
	;; [unrolled: 1-line block ×3, first 2 shown]
	s_waitcnt lgkmcnt(2)
	v_add_f64 v[135:136], v[74:75], -v[42:43]
	v_fma_f64 v[0:1], v[145:146], s[4:5], -v[161:162]
	v_fma_f64 v[2:3], v[155:156], s[16:17], v[163:164]
	v_add_f64 v[113:114], v[72:73], v[40:41]
	v_fma_f64 v[4:5], v[89:90], s[6:7], -v[119:120]
	v_add_f64 v[115:116], v[74:75], v[42:43]
	v_fma_f64 v[6:7], v[97:98], s[14:15], v[121:122]
	v_add_f64 v[137:138], v[72:73], -v[40:41]
	s_mov_b32 s41, 0xbfeca52d
	s_mov_b32 s39, 0x3feca52d
	;; [unrolled: 1-line block ×3, first 2 shown]
	ds_read_b128 v[76:79], v247 offset:13312
	ds_read_b128 v[64:67], v247 offset:14976
	v_mul_f64 v[167:168], v[127:128], s[36:37]
	s_mov_b32 s28, 0x2b2883cd
	v_mul_f64 v[169:170], v[109:110], s[20:21]
	s_waitcnt lgkmcnt(2)
	v_add_f64 v[143:144], v[70:71], -v[54:55]
	v_add_f64 v[123:124], v[68:69], v[52:53]
	v_add_f64 v[125:126], v[70:71], v[54:55]
	s_mov_b32 s29, 0x3fdc86fa
	v_add_f64 v[151:152], v[68:69], -v[52:53]
	s_mov_b32 s46, 0x5d8e7cdc
	s_mov_b32 s47, 0x3fd71e95
	v_mul_f64 v[171:172], v[135:136], s[34:35]
	v_add_f64 v[0:1], v[20:21], v[0:1]
	v_add_f64 v[2:3], v[22:23], v[2:3]
	s_mov_b32 s30, 0x370991
	s_mov_b32 s31, 0x3fedd6d0
	v_mul_f64 v[173:174], v[115:116], s[24:25]
	v_mul_f64 v[233:234], v[147:148], s[40:41]
	;; [unrolled: 1-line block ×4, first 2 shown]
	s_waitcnt lgkmcnt(0)
	v_add_f64 v[153:154], v[78:79], -v[66:67]
	v_add_f64 v[131:132], v[76:77], v[64:65]
	v_add_f64 v[133:134], v[78:79], v[66:67]
	v_add_f64 v[157:158], v[76:77], -v[64:65]
	v_mul_f64 v[185:186], v[87:88], s[8:9]
	s_mov_b32 s51, 0x3fc7851a
	v_mul_f64 v[175:176], v[143:144], s[38:39]
	s_mov_b32 s50, s22
	v_mul_f64 v[177:178], v[125:126], s[28:29]
	v_mul_f64 v[187:188], v[103:104], s[50:51]
	;; [unrolled: 1-line block ×5, first 2 shown]
	s_mov_b32 s43, 0x3fe58eea
	v_add_f64 v[0:1], v[4:5], v[0:1]
	v_fma_f64 v[4:5], v[93:94], s[8:9], -v[139:140]
	v_add_f64 v[2:3], v[6:7], v[2:3]
	s_mov_b32 s42, s16
	v_mul_f64 v[207:208], v[109:110], s[4:5]
	v_mul_f64 v[199:200], v[127:128], s[42:43]
	v_fma_f64 v[6:7], v[89:90], s[8:9], -v[183:184]
	s_mov_b32 s45, 0xbfd71e95
	v_mul_f64 v[179:180], v[153:154], s[46:47]
	s_mov_b32 s44, s46
	v_mul_f64 v[181:182], v[133:134], s[30:31]
	v_mul_f64 v[201:202], v[135:136], s[44:45]
	v_fma_f64 v[8:9], v[97:98], s[26:27], v[185:186]
	v_mul_f64 v[209:210], v[115:116], s[30:31]
	v_mul_f64 v[195:196], v[143:144], s[14:15]
	;; [unrolled: 1-line block ×3, first 2 shown]
	s_mov_b32 s49, 0xbfe0d888
	s_mov_b32 s48, s36
	v_mul_f64 v[205:206], v[133:134], s[20:21]
	v_mul_f64 v[197:198], v[153:154], s[48:49]
	;; [unrolled: 1-line block ×5, first 2 shown]
	v_add_f64 v[0:1], v[4:5], v[0:1]
	v_fma_f64 v[4:5], v[105:106], s[26:27], v[141:142]
	v_mul_f64 v[213:214], v[87:88], s[18:19]
	v_mul_f64 v[231:232], v[115:116], s[20:21]
	s_mov_b32 s53, 0x3fe9895b
	s_mov_b32 s52, s26
	v_mul_f64 v[239:240], v[125:126], s[8:9]
	s_mov_b32 s33, exec_lo
	s_barrier
	buffer_gl0_inv
	v_fma_f64 v[10:11], v[89:90], s[18:19], -v[211:212]
	v_add_f64 v[2:3], v[4:5], v[2:3]
	v_fma_f64 v[4:5], v[99:100], s[18:19], -v[159:160]
	v_fma_f64 v[215:216], v[97:98], s[22:23], v[213:214]
	v_add_f64 v[0:1], v[4:5], v[0:1]
	v_fma_f64 v[4:5], v[117:118], s[22:23], v[165:166]
	v_add_f64 v[2:3], v[4:5], v[2:3]
	v_fma_f64 v[4:5], v[107:108], s[20:21], -v[167:168]
	v_add_f64 v[0:1], v[4:5], v[0:1]
	v_fma_f64 v[4:5], v[129:130], s[36:37], v[169:170]
	v_add_f64 v[2:3], v[4:5], v[2:3]
	v_fma_f64 v[4:5], v[113:114], s[24:25], -v[171:172]
	v_add_f64 v[0:1], v[4:5], v[0:1]
	v_fma_f64 v[4:5], v[137:138], s[34:35], v[173:174]
	v_add_f64 v[2:3], v[4:5], v[2:3]
	v_fma_f64 v[4:5], v[123:124], s[28:29], -v[175:176]
	v_add_f64 v[0:1], v[4:5], v[0:1]
	v_fma_f64 v[4:5], v[151:152], s[38:39], v[177:178]
	v_add_f64 v[2:3], v[4:5], v[2:3]
	v_fma_f64 v[4:5], v[131:132], s[30:31], -v[179:180]
	v_add_f64 v[0:1], v[4:5], v[0:1]
	v_fma_f64 v[4:5], v[157:158], s[46:47], v[181:182]
	v_add_f64 v[2:3], v[4:5], v[2:3]
	v_fma_f64 v[4:5], v[145:146], s[28:29], -v[233:234]
	v_add_f64 v[4:5], v[20:21], v[4:5]
	v_add_f64 v[4:5], v[6:7], v[4:5]
	v_fma_f64 v[6:7], v[155:156], s[40:41], v[237:238]
	v_add_f64 v[6:7], v[22:23], v[6:7]
	v_add_f64 v[6:7], v[8:9], v[6:7]
	v_fma_f64 v[8:9], v[93:94], s[18:19], -v[187:188]
	v_add_f64 v[4:5], v[8:9], v[4:5]
	v_fma_f64 v[8:9], v[105:106], s[50:51], v[191:192]
	v_add_f64 v[6:7], v[8:9], v[6:7]
	v_fma_f64 v[8:9], v[99:100], s[24:25], -v[189:190]
	v_add_f64 v[4:5], v[8:9], v[4:5]
	v_fma_f64 v[8:9], v[117:118], s[34:35], v[193:194]
	;; [unrolled: 4-line block ×6, first 2 shown]
	v_add_f64 v[6:7], v[8:9], v[6:7]
	v_fma_f64 v[8:9], v[145:146], s[6:7], -v[243:244]
	v_add_f64 v[8:9], v[20:21], v[8:9]
	v_add_f64 v[8:9], v[10:11], v[8:9]
	v_fma_f64 v[10:11], v[155:156], s[14:15], v[245:246]
	v_add_f64 v[10:11], v[22:23], v[10:11]
	v_add_f64 v[10:11], v[215:216], v[10:11]
	v_mul_f64 v[215:216], v[103:104], s[34:35]
	v_fma_f64 v[217:218], v[93:94], s[24:25], -v[215:216]
	v_add_f64 v[8:9], v[217:218], v[8:9]
	v_mul_f64 v[217:218], v[95:96], s[24:25]
	v_fma_f64 v[219:220], v[105:106], s[34:35], v[217:218]
	v_add_f64 v[10:11], v[219:220], v[10:11]
	v_mul_f64 v[219:220], v[111:112], s[46:47]
	v_fma_f64 v[221:222], v[99:100], s[30:31], -v[219:220]
	v_add_f64 v[8:9], v[221:222], v[8:9]
	v_mul_f64 v[221:222], v[101:102], s[30:31]
	v_fma_f64 v[223:224], v[117:118], s[46:47], v[221:222]
	;; [unrolled: 6-line block ×3, first 2 shown]
	v_add_f64 v[10:11], v[227:228], v[10:11]
	v_mul_f64 v[227:228], v[135:136], s[48:49]
	v_fma_f64 v[229:230], v[113:114], s[20:21], -v[227:228]
	v_add_f64 v[8:9], v[229:230], v[8:9]
	v_fma_f64 v[229:230], v[137:138], s[48:49], v[231:232]
	v_add_f64 v[10:11], v[229:230], v[10:11]
	v_mul_f64 v[229:230], v[143:144], s[52:53]
	v_fma_f64 v[235:236], v[123:124], s[8:9], -v[229:230]
	v_add_f64 v[8:9], v[235:236], v[8:9]
	v_fma_f64 v[235:236], v[151:152], s[52:53], v[239:240]
	v_add_f64 v[10:11], v[235:236], v[10:11]
	v_mul_f64 v[235:236], v[153:154], s[42:43]
	v_fma_f64 v[241:242], v[131:132], s[4:5], -v[235:236]
	v_add_f64 v[8:9], v[241:242], v[8:9]
	v_mul_f64 v[241:242], v[133:134], s[4:5]
	v_fma_f64 v[248:249], v[157:158], s[42:43], v[241:242]
	v_add_f64 v[10:11], v[248:249], v[10:11]
	v_cmpx_gt_u32_e32 0x68, v82
	s_cbranch_execz .LBB0_23
; %bb.22:
	v_add_f64 v[38:39], v[22:23], v[38:39]
	v_add_f64 v[36:37], v[20:21], v[36:37]
	s_mov_b32 s1, 0xbfeec746
	s_mov_b32 s0, s34
	s_mov_b32 s55, 0x3fefdd0d
	s_mov_b32 s54, s14
	v_mul_f64 v[248:249], v[137:138], s[26:27]
	v_mul_f64 v[250:251], v[135:136], s[26:27]
	;; [unrolled: 1-line block ×4, first 2 shown]
	v_add_f64 v[38:39], v[38:39], v[46:47]
	v_add_f64 v[36:37], v[36:37], v[44:45]
	;; [unrolled: 1-line block ×6, first 2 shown]
	v_mul_f64 v[60:61], v[147:148], s[0:1]
	v_add_f64 v[38:39], v[38:39], v[58:59]
	v_add_f64 v[36:37], v[36:37], v[56:57]
	v_mul_f64 v[56:57], v[147:148], s[26:27]
	v_mul_f64 v[58:59], v[147:148], s[44:45]
	v_add_f64 v[38:39], v[38:39], v[74:75]
	v_add_f64 v[36:37], v[36:37], v[72:73]
	;; [unrolled: 1-line block ×4, first 2 shown]
	v_fma_f64 v[68:69], v[145:146], s[30:31], -v[58:59]
	v_fma_f64 v[58:59], v[145:146], s[30:31], v[58:59]
	v_fma_f64 v[70:71], v[145:146], s[24:25], -v[60:61]
	v_fma_f64 v[60:61], v[145:146], s[24:25], v[60:61]
	v_add_f64 v[38:39], v[38:39], v[78:79]
	v_add_f64 v[36:37], v[36:37], v[76:77]
	;; [unrolled: 1-line block ×6, first 2 shown]
	v_fma_f64 v[66:67], v[145:146], s[8:9], -v[56:57]
	v_fma_f64 v[56:57], v[145:146], s[8:9], v[56:57]
	v_add_f64 v[38:39], v[38:39], v[54:55]
	v_add_f64 v[36:37], v[36:37], v[52:53]
	v_mul_f64 v[52:53], v[147:148], s[22:23]
	v_mul_f64 v[54:55], v[147:148], s[48:49]
	v_add_f64 v[66:67], v[20:21], v[66:67]
	v_add_f64 v[38:39], v[38:39], v[42:43]
	;; [unrolled: 1-line block ×3, first 2 shown]
	v_fma_f64 v[62:63], v[145:146], s[18:19], -v[52:53]
	v_fma_f64 v[52:53], v[145:146], s[18:19], v[52:53]
	v_fma_f64 v[64:65], v[145:146], s[20:21], -v[54:55]
	v_fma_f64 v[54:55], v[145:146], s[20:21], v[54:55]
	v_mul_f64 v[40:41], v[155:156], s[0:1]
	v_add_f64 v[34:35], v[38:39], v[34:35]
	v_add_f64 v[32:33], v[36:37], v[32:33]
	v_mul_f64 v[36:37], v[155:156], s[26:27]
	v_mul_f64 v[38:39], v[155:156], s[44:45]
	v_add_f64 v[62:63], v[20:21], v[62:63]
	v_add_f64 v[52:53], v[20:21], v[52:53]
	;; [unrolled: 1-line block ×4, first 2 shown]
	v_fma_f64 v[50:51], v[149:150], s[24:25], v[40:41]
	v_fma_f64 v[40:41], v[149:150], s[24:25], -v[40:41]
	v_add_f64 v[30:31], v[34:35], v[30:31]
	v_add_f64 v[28:29], v[32:33], v[28:29]
	v_mul_f64 v[32:33], v[155:156], s[22:23]
	v_mul_f64 v[34:35], v[155:156], s[48:49]
	v_fma_f64 v[46:47], v[149:150], s[8:9], v[36:37]
	v_fma_f64 v[48:49], v[149:150], s[30:31], v[38:39]
	v_fma_f64 v[36:37], v[149:150], s[8:9], -v[36:37]
	v_fma_f64 v[38:39], v[149:150], s[30:31], -v[38:39]
	v_add_f64 v[147:148], v[22:23], v[50:51]
	v_add_f64 v[40:41], v[22:23], v[40:41]
	;; [unrolled: 1-line block ×4, first 2 shown]
	v_mul_f64 v[30:31], v[145:146], s[4:5]
	v_mul_f64 v[28:29], v[155:156], s[16:17]
	v_fma_f64 v[42:43], v[149:150], s[18:19], v[32:33]
	v_fma_f64 v[44:45], v[149:150], s[20:21], v[34:35]
	v_fma_f64 v[34:35], v[149:150], s[20:21], -v[34:35]
	v_add_f64 v[76:77], v[22:23], v[46:47]
	v_add_f64 v[46:47], v[20:21], v[56:57]
	v_fma_f64 v[32:33], v[149:150], s[18:19], -v[32:33]
	v_add_f64 v[18:19], v[26:27], v[18:19]
	v_add_f64 v[16:17], v[24:25], v[16:17]
	v_mul_f64 v[26:27], v[145:146], s[28:29]
	v_mul_f64 v[24:25], v[155:156], s[40:41]
	v_add_f64 v[30:31], v[30:31], v[161:162]
	v_add_f64 v[28:29], v[163:164], -v[28:29]
	v_add_f64 v[42:43], v[22:23], v[42:43]
	v_add_f64 v[72:73], v[22:23], v[44:45]
	;; [unrolled: 1-line block ×6, first 2 shown]
	v_mul_f64 v[18:19], v[145:146], s[6:7]
	v_add_f64 v[12:13], v[16:17], v[12:13]
	v_mul_f64 v[16:17], v[155:156], s[14:15]
	v_add_f64 v[26:27], v[26:27], v[233:234]
	v_add_f64 v[24:25], v[237:238], -v[24:25]
	v_add_f64 v[30:31], v[20:21], v[30:31]
	v_add_f64 v[145:146], v[22:23], v[48:49]
	;; [unrolled: 1-line block ×4, first 2 shown]
	v_mul_f64 v[237:238], v[157:158], s[54:55]
	v_add_f64 v[18:19], v[18:19], v[243:244]
	v_mul_f64 v[243:244], v[153:154], s[54:55]
	v_add_f64 v[16:17], v[245:246], -v[16:17]
	v_add_f64 v[78:79], v[20:21], v[26:27]
	v_add_f64 v[26:27], v[20:21], v[58:59]
	;; [unrolled: 1-line block ×4, first 2 shown]
	v_mul_f64 v[38:39], v[105:106], s[48:49]
	v_mul_f64 v[245:246], v[127:128], s[0:1]
	v_add_f64 v[56:57], v[20:21], v[18:19]
	v_mul_f64 v[20:21], v[97:98], s[46:47]
	v_add_f64 v[36:37], v[22:23], v[16:17]
	v_mul_f64 v[22:23], v[91:92], s[46:47]
	v_fma_f64 v[16:17], v[87:88], s[30:31], v[20:21]
	v_fma_f64 v[20:21], v[87:88], s[30:31], -v[20:21]
	v_fma_f64 v[18:19], v[89:90], s[30:31], -v[22:23]
	v_fma_f64 v[22:23], v[89:90], s[30:31], v[22:23]
	v_add_f64 v[16:17], v[16:17], v[42:43]
	v_fma_f64 v[42:43], v[95:96], s[20:21], v[38:39]
	v_add_f64 v[18:19], v[18:19], v[62:63]
	v_add_f64 v[20:21], v[20:21], v[32:33]
	v_fma_f64 v[32:33], v[95:96], s[20:21], -v[38:39]
	v_add_f64 v[22:23], v[22:23], v[52:53]
	v_fma_f64 v[38:39], v[131:132], s[6:7], v[243:244]
	v_mul_f64 v[52:53], v[117:118], s[22:23]
	v_add_f64 v[16:17], v[42:43], v[16:17]
	v_mul_f64 v[42:43], v[103:104], s[48:49]
	v_add_f64 v[20:21], v[32:33], v[20:21]
	v_add_f64 v[52:53], v[165:166], -v[52:53]
	v_mul_f64 v[165:166], v[111:112], s[40:41]
	v_fma_f64 v[50:51], v[93:94], s[20:21], -v[42:43]
	v_fma_f64 v[32:33], v[93:94], s[20:21], v[42:43]
	v_mov_b32_e32 v42, v119
	v_mov_b32_e32 v43, v120
	v_mul_f64 v[119:120], v[157:158], s[22:23]
	v_add_f64 v[18:19], v[50:51], v[18:19]
	v_mul_f64 v[50:51], v[117:118], s[42:43]
	v_add_f64 v[22:23], v[32:33], v[22:23]
	v_fma_f64 v[58:59], v[101:102], s[4:5], v[50:51]
	v_fma_f64 v[32:33], v[101:102], s[4:5], -v[50:51]
	v_mul_f64 v[50:51], v[93:94], s[8:9]
	v_add_f64 v[16:17], v[58:59], v[16:17]
	v_mul_f64 v[58:59], v[111:112], s[42:43]
	v_add_f64 v[20:21], v[32:33], v[20:21]
	v_add_f64 v[50:51], v[50:51], v[139:140]
	v_mul_f64 v[139:140], v[137:138], s[34:35]
	v_fma_f64 v[60:61], v[99:100], s[4:5], -v[58:59]
	v_fma_f64 v[32:33], v[99:100], s[4:5], v[58:59]
	v_mul_f64 v[58:59], v[99:100], s[18:19]
	v_add_f64 v[139:140], v[173:174], -v[139:140]
	v_mul_f64 v[173:174], v[135:136], s[54:55]
	v_add_f64 v[18:19], v[60:61], v[18:19]
	v_mul_f64 v[60:61], v[129:130], s[26:27]
	v_add_f64 v[22:23], v[32:33], v[22:23]
	v_add_f64 v[58:59], v[58:59], v[159:160]
	v_mul_f64 v[159:160], v[129:130], s[22:23]
	v_fma_f64 v[62:63], v[109:110], s[8:9], v[60:61]
	v_fma_f64 v[32:33], v[109:110], s[8:9], -v[60:61]
	v_mul_f64 v[60:61], v[129:130], s[36:37]
	v_add_f64 v[16:17], v[62:63], v[16:17]
	v_mul_f64 v[62:63], v[127:128], s[26:27]
	v_add_f64 v[20:21], v[32:33], v[20:21]
	v_add_f64 v[60:61], v[169:170], -v[60:61]
	v_mul_f64 v[169:170], v[127:128], s[22:23]
	v_fma_f64 v[149:150], v[107:108], s[8:9], -v[62:63]
	v_fma_f64 v[32:33], v[107:108], s[8:9], v[62:63]
	v_mul_f64 v[62:63], v[107:108], s[20:21]
	v_add_f64 v[18:19], v[149:150], v[18:19]
	v_mul_f64 v[149:150], v[137:138], s[38:39]
	v_add_f64 v[22:23], v[32:33], v[22:23]
	v_add_f64 v[62:63], v[62:63], v[167:168]
	v_mul_f64 v[167:168], v[137:138], s[54:55]
	v_fma_f64 v[155:156], v[115:116], s[28:29], v[149:150]
	v_fma_f64 v[32:33], v[115:116], s[28:29], -v[149:150]
	v_mul_f64 v[149:150], v[97:98], s[16:17]
	v_add_f64 v[16:17], v[155:156], v[16:17]
	v_mul_f64 v[155:156], v[135:136], s[38:39]
	v_add_f64 v[20:21], v[32:33], v[20:21]
	v_fma_f64 v[161:162], v[113:114], s[28:29], -v[155:156]
	v_fma_f64 v[32:33], v[113:114], s[28:29], v[155:156]
	v_mul_f64 v[155:156], v[91:92], s[16:17]
	v_add_f64 v[18:19], v[161:162], v[18:19]
	v_mul_f64 v[161:162], v[151:152], s[0:1]
	v_add_f64 v[22:23], v[32:33], v[22:23]
	v_fma_f64 v[163:164], v[125:126], s[24:25], v[161:162]
	v_fma_f64 v[32:33], v[125:126], s[24:25], -v[161:162]
	v_mul_f64 v[161:162], v[105:106], s[40:41]
	v_add_f64 v[16:17], v[163:164], v[16:17]
	v_mul_f64 v[163:164], v[143:144], s[0:1]
	v_add_f64 v[20:21], v[32:33], v[20:21]
	v_fma_f64 v[32:33], v[123:124], s[24:25], v[163:164]
	v_fma_f64 v[233:234], v[123:124], s[24:25], -v[163:164]
	v_mul_f64 v[163:164], v[103:104], s[40:41]
	v_add_f64 v[32:33], v[32:33], v[22:23]
	v_fma_f64 v[22:23], v[133:134], s[6:7], -v[237:238]
	v_add_f64 v[233:234], v[233:234], v[18:19]
	v_fma_f64 v[18:19], v[133:134], s[6:7], v[237:238]
	v_mul_f64 v[237:238], v[111:112], s[14:15]
	v_add_f64 v[22:23], v[22:23], v[20:21]
	v_add_f64 v[20:21], v[38:39], v[32:33]
	v_fma_f64 v[32:33], v[87:88], s[4:5], -v[149:150]
	v_add_f64 v[18:19], v[18:19], v[16:17]
	v_fma_f64 v[16:17], v[131:132], s[6:7], -v[243:244]
	v_mul_f64 v[243:244], v[129:130], s[0:1]
	v_mov_b32_e32 v38, v121
	v_mov_b32_e32 v39, v122
	v_mul_f64 v[121:122], v[153:154], s[22:23]
	v_add_f64 v[24:25], v[32:33], v[24:25]
	v_fma_f64 v[32:33], v[89:90], s[4:5], v[155:156]
	v_add_f64 v[16:17], v[16:17], v[233:234]
	v_mul_f64 v[233:234], v[117:118], s[14:15]
	v_add_f64 v[26:27], v[32:33], v[26:27]
	v_fma_f64 v[32:33], v[95:96], s[28:29], -v[161:162]
	v_add_f64 v[24:25], v[32:33], v[24:25]
	v_fma_f64 v[32:33], v[93:94], s[28:29], v[163:164]
	v_add_f64 v[26:27], v[32:33], v[26:27]
	v_fma_f64 v[32:33], v[101:102], s[6:7], -v[233:234]
	v_add_f64 v[24:25], v[32:33], v[24:25]
	v_fma_f64 v[32:33], v[99:100], s[6:7], v[237:238]
	;; [unrolled: 4-line block ×6, first 2 shown]
	v_add_f64 v[24:25], v[24:25], v[32:33]
	v_mul_f64 v[32:33], v[97:98], s[14:15]
	v_add_f64 v[32:33], v[38:39], -v[32:33]
	v_mul_f64 v[38:39], v[89:90], s[6:7]
	v_add_f64 v[28:29], v[32:33], v[28:29]
	v_add_f64 v[38:39], v[38:39], v[42:43]
	v_mul_f64 v[42:43], v[105:106], s[26:27]
	v_mul_f64 v[32:33], v[113:114], s[24:25]
	v_add_f64 v[30:31], v[38:39], v[30:31]
	v_add_f64 v[42:43], v[141:142], -v[42:43]
	v_add_f64 v[32:33], v[32:33], v[171:172]
	v_mul_f64 v[38:39], v[151:152], s[38:39]
	v_mul_f64 v[141:142], v[103:104], s[42:43]
	;; [unrolled: 1-line block ×3, first 2 shown]
	v_add_f64 v[30:31], v[50:51], v[30:31]
	v_add_f64 v[28:29], v[42:43], v[28:29]
	v_mul_f64 v[42:43], v[123:124], s[28:29]
	v_add_f64 v[38:39], v[177:178], -v[38:39]
	v_mul_f64 v[50:51], v[157:158], s[46:47]
	v_mul_f64 v[177:178], v[157:158], s[26:27]
	v_add_f64 v[30:31], v[58:59], v[30:31]
	v_add_f64 v[28:29], v[52:53], v[28:29]
	;; [unrolled: 1-line block ×3, first 2 shown]
	v_mul_f64 v[58:59], v[93:94], s[18:19]
	v_add_f64 v[50:51], v[181:182], -v[50:51]
	v_mul_f64 v[52:53], v[129:130], s[42:43]
	v_mul_f64 v[175:176], v[143:144], s[44:45]
	;; [unrolled: 1-line block ×3, first 2 shown]
	v_add_f64 v[30:31], v[62:63], v[30:31]
	v_add_f64 v[28:29], v[60:61], v[28:29]
	v_mul_f64 v[62:63], v[99:100], s[24:25]
	v_add_f64 v[58:59], v[58:59], v[187:188]
	v_mul_f64 v[60:61], v[107:108], s[4:5]
	v_add_f64 v[52:53], v[207:208], -v[52:53]
	v_mul_f64 v[187:188], v[91:92], s[34:35]
	v_add_f64 v[30:31], v[32:33], v[30:31]
	v_add_f64 v[28:29], v[139:140], v[28:29]
	v_mul_f64 v[32:33], v[131:132], s[30:31]
	v_add_f64 v[62:63], v[62:63], v[189:190]
	v_add_f64 v[60:61], v[60:61], v[199:200]
	v_mul_f64 v[139:140], v[137:138], s[44:45]
	v_mul_f64 v[189:190], v[103:104], s[44:45]
	;; [unrolled: 1-line block ×3, first 2 shown]
	v_add_f64 v[28:29], v[38:39], v[28:29]
	v_add_f64 v[32:33], v[32:33], v[179:180]
	;; [unrolled: 1-line block ×3, first 2 shown]
	v_mul_f64 v[42:43], v[117:118], s[34:35]
	v_add_f64 v[139:140], v[209:210], -v[139:140]
	v_mul_f64 v[179:180], v[153:154], s[26:27]
	v_add_f64 v[30:31], v[50:51], v[28:29]
	v_mul_f64 v[50:51], v[89:90], s[8:9]
	v_add_f64 v[28:29], v[32:33], v[38:39]
	v_mul_f64 v[32:33], v[97:98], s[26:27]
	v_mul_f64 v[38:39], v[105:106], s[50:51]
	v_add_f64 v[42:43], v[193:194], -v[42:43]
	v_mul_f64 v[193:194], v[127:128], s[54:55]
	v_add_f64 v[50:51], v[50:51], v[183:184]
	v_mul_f64 v[183:184], v[129:130], s[54:55]
	v_add_f64 v[32:33], v[185:186], -v[32:33]
	v_add_f64 v[38:39], v[191:192], -v[38:39]
	v_mul_f64 v[185:186], v[137:138], s[16:17]
	v_mul_f64 v[191:192], v[111:112], s[48:49]
	v_add_f64 v[32:33], v[32:33], v[34:35]
	v_add_f64 v[34:35], v[50:51], v[78:79]
	v_mul_f64 v[50:51], v[113:114], s[30:31]
	v_mul_f64 v[78:79], v[91:92], s[36:37]
	;; [unrolled: 1-line block ×3, first 2 shown]
	v_add_f64 v[32:33], v[38:39], v[32:33]
	v_add_f64 v[34:35], v[58:59], v[34:35]
	;; [unrolled: 1-line block ×3, first 2 shown]
	v_mul_f64 v[38:39], v[151:152], s[14:15]
	v_mul_f64 v[58:59], v[89:90], s[18:19]
	v_mul_f64 v[201:202], v[157:158], s[38:39]
	v_add_f64 v[32:33], v[42:43], v[32:33]
	v_add_f64 v[34:35], v[62:63], v[34:35]
	v_mul_f64 v[42:43], v[123:124], s[6:7]
	v_add_f64 v[38:39], v[203:204], -v[38:39]
	v_add_f64 v[58:59], v[58:59], v[211:212]
	v_mul_f64 v[62:63], v[93:94], s[24:25]
	v_mul_f64 v[203:204], v[153:154], s[38:39]
	v_add_f64 v[32:33], v[52:53], v[32:33]
	v_add_f64 v[34:35], v[60:61], v[34:35]
	;; [unrolled: 1-line block ×3, first 2 shown]
	v_mul_f64 v[52:53], v[157:158], s[48:49]
	v_add_f64 v[56:57], v[58:59], v[56:57]
	v_add_f64 v[62:63], v[62:63], v[215:216]
	v_mul_f64 v[60:61], v[137:138], s[48:49]
	v_mul_f64 v[58:59], v[105:106], s[44:45]
	;; [unrolled: 1-line block ×3, first 2 shown]
	v_add_f64 v[32:33], v[139:140], v[32:33]
	v_add_f64 v[34:35], v[50:51], v[34:35]
	v_mul_f64 v[50:51], v[131:132], s[20:21]
	v_add_f64 v[52:53], v[205:206], -v[52:53]
	v_mul_f64 v[139:140], v[117:118], s[40:41]
	v_add_f64 v[56:57], v[62:63], v[56:57]
	v_add_f64 v[60:61], v[231:232], -v[60:61]
	v_mul_f64 v[62:63], v[105:106], s[42:43]
	v_add_f64 v[32:33], v[38:39], v[32:33]
	v_add_f64 v[38:39], v[42:43], v[34:35]
	;; [unrolled: 1-line block ×3, first 2 shown]
	v_mul_f64 v[42:43], v[105:106], s[34:35]
	v_mul_f64 v[197:198], v[135:136], s[16:17]
	v_add_f64 v[34:35], v[52:53], v[32:33]
	v_mul_f64 v[52:53], v[129:130], s[40:41]
	v_add_f64 v[32:33], v[50:51], v[38:39]
	v_mul_f64 v[38:39], v[97:98], s[22:23]
	v_add_f64 v[42:43], v[217:218], -v[42:43]
	v_mul_f64 v[50:51], v[117:118], s[46:47]
	v_add_f64 v[52:53], v[225:226], -v[52:53]
	v_add_f64 v[38:39], v[213:214], -v[38:39]
	;; [unrolled: 1-line block ×3, first 2 shown]
	v_add_f64 v[36:37], v[38:39], v[36:37]
	v_mul_f64 v[38:39], v[151:152], s[52:53]
	v_add_f64 v[36:37], v[42:43], v[36:37]
	v_mul_f64 v[42:43], v[99:100], s[30:31]
	v_add_f64 v[38:39], v[239:240], -v[38:39]
	v_add_f64 v[36:37], v[50:51], v[36:37]
	v_add_f64 v[42:43], v[42:43], v[219:220]
	v_mul_f64 v[50:51], v[107:108], s[28:29]
	v_add_f64 v[36:37], v[52:53], v[36:37]
	v_add_f64 v[42:43], v[42:43], v[56:57]
	;; [unrolled: 1-line block ×3, first 2 shown]
	v_mul_f64 v[52:53], v[113:114], s[20:21]
	v_add_f64 v[36:37], v[60:61], v[36:37]
	v_mul_f64 v[60:61], v[97:98], s[36:37]
	v_add_f64 v[42:43], v[50:51], v[42:43]
	v_add_f64 v[52:53], v[52:53], v[227:228]
	v_mul_f64 v[50:51], v[123:124], s[8:9]
	v_add_f64 v[36:37], v[38:39], v[36:37]
	v_mul_f64 v[38:39], v[131:132], s[4:5]
	v_add_f64 v[42:43], v[52:53], v[42:43]
	v_add_f64 v[50:51], v[50:51], v[229:230]
	v_mul_f64 v[52:53], v[157:158], s[42:43]
	v_add_f64 v[56:57], v[38:39], v[235:236]
	v_add_f64 v[42:43], v[50:51], v[42:43]
	v_add_f64 v[52:53], v[241:242], -v[52:53]
	v_add_f64 v[38:39], v[52:53], v[36:37]
	v_add_f64 v[36:37], v[56:57], v[42:43]
	v_fma_f64 v[42:43], v[87:88], s[20:21], -v[60:61]
	v_mul_f64 v[56:57], v[97:98], s[34:35]
	v_mul_f64 v[52:53], v[97:98], s[38:39]
	;; [unrolled: 1-line block ×4, first 2 shown]
	v_fma_f64 v[60:61], v[87:88], s[20:21], v[60:61]
	v_add_f64 v[40:41], v[42:43], v[40:41]
	v_fma_f64 v[42:43], v[95:96], s[4:5], -v[62:63]
	v_fma_f64 v[62:63], v[95:96], s[4:5], v[62:63]
	v_add_f64 v[60:61], v[60:61], v[147:148]
	v_add_f64 v[40:41], v[42:43], v[40:41]
	v_fma_f64 v[42:43], v[89:90], s[20:21], v[78:79]
	v_add_f64 v[60:61], v[62:63], v[60:61]
	v_fma_f64 v[62:63], v[101:102], s[28:29], v[139:140]
	v_add_f64 v[42:43], v[42:43], v[48:49]
	v_fma_f64 v[48:49], v[101:102], s[28:29], -v[139:140]
	v_add_f64 v[60:61], v[62:63], v[60:61]
	v_fma_f64 v[62:63], v[89:90], s[20:21], -v[78:79]
	v_add_f64 v[40:41], v[48:49], v[40:41]
	v_fma_f64 v[48:49], v[93:94], s[4:5], v[141:142]
	v_add_f64 v[62:63], v[62:63], v[70:71]
	v_fma_f64 v[70:71], v[95:96], s[28:29], v[161:162]
	v_add_f64 v[42:43], v[48:49], v[42:43]
	v_fma_f64 v[48:49], v[109:110], s[18:19], -v[159:160]
	v_add_f64 v[40:41], v[48:49], v[40:41]
	v_fma_f64 v[48:49], v[99:100], s[28:29], v[165:166]
	v_add_f64 v[42:43], v[48:49], v[42:43]
	v_fma_f64 v[48:49], v[115:116], s[6:7], -v[167:168]
	;; [unrolled: 4-line block ×3, first 2 shown]
	v_add_f64 v[40:41], v[48:49], v[40:41]
	v_fma_f64 v[48:49], v[113:114], s[6:7], v[173:174]
	v_add_f64 v[42:43], v[48:49], v[42:43]
	v_fma_f64 v[48:49], v[123:124], s[30:31], v[175:176]
	v_add_f64 v[48:49], v[48:49], v[42:43]
	v_fma_f64 v[42:43], v[133:134], s[8:9], -v[177:178]
	v_add_f64 v[42:43], v[42:43], v[40:41]
	v_fma_f64 v[40:41], v[131:132], s[8:9], v[179:180]
	v_add_f64 v[40:41], v[40:41], v[48:49]
	v_fma_f64 v[48:49], v[87:88], s[24:25], -v[56:57]
	v_fma_f64 v[56:57], v[87:88], s[24:25], v[56:57]
	v_add_f64 v[44:45], v[48:49], v[44:45]
	v_fma_f64 v[48:49], v[95:96], s[30:31], -v[58:59]
	v_add_f64 v[56:57], v[56:57], v[76:77]
	v_fma_f64 v[58:59], v[95:96], s[30:31], v[58:59]
	v_add_f64 v[44:45], v[48:49], v[44:45]
	v_fma_f64 v[48:49], v[101:102], s[20:21], -v[181:182]
	v_add_f64 v[56:57], v[58:59], v[56:57]
	v_fma_f64 v[58:59], v[101:102], s[20:21], v[181:182]
	v_add_f64 v[44:45], v[48:49], v[44:45]
	v_fma_f64 v[48:49], v[109:110], s[6:7], -v[183:184]
	v_add_f64 v[56:57], v[58:59], v[56:57]
	v_fma_f64 v[58:59], v[109:110], s[6:7], v[183:184]
	v_add_f64 v[44:45], v[48:49], v[44:45]
	v_fma_f64 v[48:49], v[115:116], s[4:5], -v[185:186]
	v_add_f64 v[56:57], v[58:59], v[56:57]
	v_fma_f64 v[58:59], v[115:116], s[4:5], v[185:186]
	v_add_f64 v[44:45], v[48:49], v[44:45]
	v_fma_f64 v[48:49], v[89:90], s[24:25], v[187:188]
	v_add_f64 v[56:57], v[58:59], v[56:57]
	;; [unrolled: 2-line block ×4, first 2 shown]
	v_fma_f64 v[58:59], v[89:90], s[24:25], -v[187:188]
	v_add_f64 v[46:47], v[48:49], v[46:47]
	v_fma_f64 v[48:49], v[99:100], s[20:21], v[191:192]
	v_add_f64 v[58:59], v[58:59], v[66:67]
	v_fma_f64 v[66:67], v[131:132], s[28:29], -v[203:204]
	v_add_f64 v[46:47], v[48:49], v[46:47]
	v_fma_f64 v[48:49], v[107:108], s[6:7], v[193:194]
	v_add_f64 v[46:47], v[48:49], v[46:47]
	;; [unrolled: 4-line block ×3, first 2 shown]
	v_fma_f64 v[48:49], v[123:124], s[18:19], v[199:200]
	v_add_f64 v[48:49], v[48:49], v[46:47]
	v_fma_f64 v[46:47], v[133:134], s[28:29], -v[201:202]
	v_add_f64 v[46:47], v[46:47], v[44:45]
	v_fma_f64 v[44:45], v[131:132], s[28:29], v[203:204]
	v_add_f64 v[44:45], v[44:45], v[48:49]
	v_fma_f64 v[48:49], v[87:88], s[28:29], -v[52:53]
	v_fma_f64 v[52:53], v[87:88], s[28:29], v[52:53]
	v_add_f64 v[48:49], v[48:49], v[74:75]
	v_mul_f64 v[74:75], v[105:106], s[14:15]
	v_mul_f64 v[105:106], v[129:130], s[44:45]
	;; [unrolled: 1-line block ×3, first 2 shown]
	v_add_f64 v[52:53], v[52:53], v[72:73]
	v_fma_f64 v[72:73], v[89:90], s[28:29], -v[91:92]
	v_mul_f64 v[151:152], v[153:154], s[0:1]
	v_fma_f64 v[50:51], v[95:96], s[6:7], -v[74:75]
	v_add_f64 v[64:65], v[72:73], v[64:65]
	v_fma_f64 v[72:73], v[95:96], s[6:7], v[74:75]
	v_add_f64 v[48:49], v[50:51], v[48:49]
	v_fma_f64 v[50:51], v[101:102], s[8:9], -v[97:98]
	v_add_f64 v[52:53], v[72:73], v[52:53]
	v_fma_f64 v[72:73], v[131:132], s[24:25], -v[151:152]
	;; [unrolled: 2-line block ×5, first 2 shown]
	v_add_f64 v[48:49], v[50:51], v[48:49]
	v_fma_f64 v[50:51], v[89:90], s[28:29], v[91:92]
	v_add_f64 v[50:51], v[50:51], v[54:55]
	v_mul_f64 v[54:55], v[103:104], s[14:15]
	v_fma_f64 v[103:104], v[93:94], s[6:7], v[54:55]
	v_fma_f64 v[54:55], v[93:94], s[6:7], -v[54:55]
	v_add_f64 v[50:51], v[103:104], v[50:51]
	v_mul_f64 v[103:104], v[111:112], s[52:53]
	v_add_f64 v[54:55], v[54:55], v[64:65]
	v_fma_f64 v[64:65], v[101:102], s[8:9], v[97:98]
	v_fma_f64 v[111:112], v[99:100], s[8:9], v[103:104]
	v_add_f64 v[52:53], v[64:65], v[52:53]
	v_fma_f64 v[64:65], v[99:100], s[8:9], -v[103:104]
	v_add_f64 v[50:51], v[111:112], v[50:51]
	v_mul_f64 v[111:112], v[127:128], s[44:45]
	v_add_f64 v[54:55], v[64:65], v[54:55]
	v_fma_f64 v[64:65], v[109:110], s[30:31], v[105:106]
	v_fma_f64 v[127:128], v[107:108], s[30:31], v[111:112]
	v_add_f64 v[52:53], v[64:65], v[52:53]
	;; [unrolled: 7-line block ×3, first 2 shown]
	v_fma_f64 v[64:65], v[113:114], s[18:19], -v[127:128]
	v_add_f64 v[50:51], v[135:136], v[50:51]
	v_mul_f64 v[135:136], v[143:144], s[42:43]
	v_mul_f64 v[143:144], v[157:158], s[0:1]
	v_add_f64 v[54:55], v[64:65], v[54:55]
	v_fma_f64 v[64:65], v[125:126], s[4:5], v[129:130]
	v_fma_f64 v[137:138], v[123:124], s[4:5], v[135:136]
	v_add_f64 v[52:53], v[64:65], v[52:53]
	v_fma_f64 v[64:65], v[123:124], s[4:5], -v[135:136]
	v_add_f64 v[137:138], v[137:138], v[50:51]
	v_fma_f64 v[50:51], v[133:134], s[24:25], -v[143:144]
	v_add_f64 v[64:65], v[64:65], v[54:55]
	v_fma_f64 v[54:55], v[133:134], s[24:25], v[143:144]
	v_add_f64 v[50:51], v[50:51], v[48:49]
	v_fma_f64 v[48:49], v[131:132], s[24:25], v[151:152]
	v_add_f64 v[54:55], v[54:55], v[52:53]
	v_add_f64 v[52:53], v[72:73], v[64:65]
	v_fma_f64 v[64:65], v[93:94], s[30:31], -v[189:190]
	v_fma_f64 v[72:73], v[93:94], s[28:29], -v[163:164]
	v_add_f64 v[48:49], v[48:49], v[137:138]
	v_add_f64 v[58:59], v[64:65], v[58:59]
	v_fma_f64 v[64:65], v[99:100], s[20:21], -v[191:192]
	v_add_f64 v[58:59], v[64:65], v[58:59]
	v_fma_f64 v[64:65], v[107:108], s[6:7], -v[193:194]
	;; [unrolled: 2-line block ×4, first 2 shown]
	v_add_f64 v[64:65], v[64:65], v[58:59]
	v_fma_f64 v[58:59], v[133:134], s[28:29], v[201:202]
	v_add_f64 v[58:59], v[58:59], v[56:57]
	v_add_f64 v[56:57], v[66:67], v[64:65]
	v_fma_f64 v[64:65], v[93:94], s[4:5], -v[141:142]
	v_fma_f64 v[66:67], v[131:132], s[8:9], -v[179:180]
	v_add_f64 v[62:63], v[64:65], v[62:63]
	v_fma_f64 v[64:65], v[109:110], s[18:19], v[159:160]
	v_add_f64 v[60:61], v[64:65], v[60:61]
	v_fma_f64 v[64:65], v[99:100], s[28:29], -v[165:166]
	v_add_f64 v[62:63], v[64:65], v[62:63]
	v_fma_f64 v[64:65], v[107:108], s[18:19], -v[169:170]
	v_add_f64 v[62:63], v[64:65], v[62:63]
	v_fma_f64 v[64:65], v[115:116], s[6:7], v[167:168]
	v_add_f64 v[60:61], v[64:65], v[60:61]
	v_fma_f64 v[64:65], v[113:114], s[6:7], -v[173:174]
	v_add_f64 v[62:63], v[64:65], v[62:63]
	v_fma_f64 v[64:65], v[125:126], s[30:31], v[171:172]
	;; [unrolled: 4-line block ×3, first 2 shown]
	v_add_f64 v[62:63], v[62:63], v[60:61]
	v_add_f64 v[60:61], v[66:67], v[64:65]
	v_fma_f64 v[64:65], v[87:88], s[4:5], v[149:150]
	v_fma_f64 v[66:67], v[89:90], s[4:5], -v[155:156]
	v_add_f64 v[64:65], v[64:65], v[145:146]
	v_add_f64 v[66:67], v[66:67], v[68:69]
	v_fma_f64 v[68:69], v[101:102], s[6:7], v[233:234]
	v_add_f64 v[64:65], v[70:71], v[64:65]
	v_fma_f64 v[70:71], v[99:100], s[6:7], -v[237:238]
	v_add_f64 v[66:67], v[72:73], v[66:67]
	v_fma_f64 v[72:73], v[109:110], s[24:25], v[243:244]
	v_add_f64 v[64:65], v[68:69], v[64:65]
	v_fma_f64 v[68:69], v[107:108], s[24:25], -v[245:246]
	;; [unrolled: 4-line block ×5, first 2 shown]
	v_add_f64 v[70:71], v[70:71], v[66:67]
	v_add_f64 v[66:67], v[72:73], v[64:65]
	;; [unrolled: 1-line block ×3, first 2 shown]
	v_mad_u32_u24 v68, 0x110, v82, 0
	ds_write_b128 v68, v[12:15]
	ds_write_b128 v68, v[24:27] offset:16
	ds_write_b128 v68, v[28:31] offset:32
	;; [unrolled: 1-line block ×16, first 2 shown]
.LBB0_23:
	s_or_b32 exec_lo, exec_lo, s33
	v_and_b32_e32 v12, 0xff, v82
	v_mov_b32_e32 v13, 12
	s_waitcnt lgkmcnt(0)
	s_barrier
	buffer_gl0_inv
	v_mul_lo_u16 v12, 0xf1, v12
	s_mov_b32 s30, 0x4267c47c
	s_mov_b32 s28, 0x42a4c3d2
	;; [unrolled: 1-line block ×4, first 2 shown]
	v_lshrrev_b16 v83, 12, v12
	s_mov_b32 s18, 0x24c2f84
	s_mov_b32 s42, 0x4bc48dbf
	;; [unrolled: 1-line block ×4, first 2 shown]
	v_mul_lo_u16 v12, v83, 17
	s_mov_b32 s21, 0xbfefc445
	s_mov_b32 s7, 0xbfedeba7
	;; [unrolled: 1-line block ×4, first 2 shown]
	v_sub_nc_u16 v155, v82, v12
	s_mov_b32 s36, 0x93053d00
	s_mov_b32 s37, 0xbfef11f4
	;; [unrolled: 1-line block ×4, first 2 shown]
	v_mul_u32_u24_sdwa v12, v155, v13 dst_sel:DWORD dst_unused:UNUSED_PAD src0_sel:BYTE_0 src1_sel:DWORD
	s_mov_b32 s0, 0xebaa3ed8
	s_mov_b32 s14, 0xb2365da1
	;; [unrolled: 1-line block ×4, first 2 shown]
	v_lshlrev_b32_e32 v87, 4, v12
	s_mov_b32 s9, 0x3fe22d96
	s_mov_b32 s1, 0x3fbedb7d
	;; [unrolled: 1-line block ×4, first 2 shown]
	s_clause 0x7
	global_load_dwordx4 v[36:39], v87, s[12:13]
	global_load_dwordx4 v[24:27], v87, s[12:13] offset:16
	global_load_dwordx4 v[16:19], v87, s[12:13] offset:32
	;; [unrolled: 1-line block ×7, first 2 shown]
	ds_read_b128 v[44:47], v247 offset:2176
	ds_read_b128 v[99:102], v247
	ds_read_b128 v[48:51], v247 offset:4352
	ds_read_b128 v[52:55], v247 offset:6528
	s_mov_b32 s27, 0x3fddbe06
	s_mov_b32 s25, 0x3fea55e2
	;; [unrolled: 1-line block ×12, first 2 shown]
	s_waitcnt vmcnt(7) lgkmcnt(3)
	v_mul_f64 v[56:57], v[46:47], v[38:39]
	v_mul_f64 v[38:39], v[44:45], v[38:39]
	s_waitcnt vmcnt(6) lgkmcnt(1)
	v_mul_f64 v[58:59], v[50:51], v[26:27]
	v_mul_f64 v[26:27], v[48:49], v[26:27]
	v_fma_f64 v[95:96], v[44:45], v[36:37], v[56:57]
	v_fma_f64 v[97:98], v[46:47], v[36:37], -v[38:39]
	v_fma_f64 v[44:45], v[48:49], v[24:25], v[58:59]
	v_fma_f64 v[46:47], v[50:51], v[24:25], -v[26:27]
	ds_read_b128 v[24:27], v247 offset:8704
	ds_read_b128 v[36:39], v247 offset:10880
	s_waitcnt vmcnt(5) lgkmcnt(2)
	v_mul_f64 v[56:57], v[54:55], v[18:19]
	v_mul_f64 v[18:19], v[52:53], v[18:19]
	s_waitcnt vmcnt(4) lgkmcnt(1)
	v_mul_f64 v[58:59], v[26:27], v[14:15]
	v_mul_f64 v[14:15], v[24:25], v[14:15]
	v_fma_f64 v[48:49], v[52:53], v[16:17], v[56:57]
	v_fma_f64 v[50:51], v[54:55], v[16:17], -v[18:19]
	s_waitcnt vmcnt(3) lgkmcnt(0)
	v_mul_f64 v[56:57], v[38:39], v[42:43]
	v_mul_f64 v[42:43], v[36:37], v[42:43]
	v_fma_f64 v[52:53], v[24:25], v[12:13], v[58:59]
	v_fma_f64 v[54:55], v[26:27], v[12:13], -v[14:15]
	ds_read_b128 v[12:15], v247 offset:13056
	ds_read_b128 v[16:19], v247 offset:15232
	v_fma_f64 v[56:57], v[36:37], v[40:41], v[56:57]
	v_fma_f64 v[58:59], v[38:39], v[40:41], -v[42:43]
	s_waitcnt vmcnt(2) lgkmcnt(1)
	v_mul_f64 v[24:25], v[14:15], v[34:35]
	v_mul_f64 v[26:27], v[12:13], v[34:35]
	s_waitcnt vmcnt(1) lgkmcnt(0)
	v_mul_f64 v[34:35], v[18:19], v[30:31]
	v_mul_f64 v[30:31], v[16:17], v[30:31]
	v_fma_f64 v[60:61], v[12:13], v[32:33], v[24:25]
	v_fma_f64 v[62:63], v[14:15], v[32:33], -v[26:27]
	ds_read_b128 v[24:27], v247 offset:17408
	global_load_dwordx4 v[12:15], v87, s[12:13] offset:128
	v_fma_f64 v[64:65], v[16:17], v[28:29], v[34:35]
	v_fma_f64 v[66:67], v[18:19], v[28:29], -v[30:31]
	ds_read_b128 v[16:19], v247 offset:19584
	s_waitcnt vmcnt(1) lgkmcnt(1)
	v_mul_f64 v[28:29], v[26:27], v[22:23]
	v_mul_f64 v[22:23], v[24:25], v[22:23]
	v_add_f64 v[166:167], v[60:61], v[64:65]
	v_add_f64 v[172:173], v[60:61], -v[64:65]
	v_fma_f64 v[68:69], v[24:25], v[20:21], v[28:29]
	v_fma_f64 v[70:71], v[26:27], v[20:21], -v[22:23]
	global_load_dwordx4 v[20:23], v87, s[12:13] offset:144
	v_add_f64 v[145:146], v[58:59], -v[70:71]
	v_add_f64 v[149:150], v[58:59], v[70:71]
	v_mul_f64 v[160:161], v[145:146], s[18:19]
	v_mul_f64 v[162:163], v[149:150], s[22:23]
	s_waitcnt vmcnt(1) lgkmcnt(0)
	v_mul_f64 v[24:25], v[18:19], v[14:15]
	v_mul_f64 v[14:15], v[16:17], v[14:15]
	v_fma_f64 v[72:73], v[16:17], v[12:13], v[24:25]
	v_fma_f64 v[74:75], v[18:19], v[12:13], -v[14:15]
	ds_read_b128 v[12:15], v247 offset:21760
	ds_read_b128 v[16:19], v247 offset:23936
	s_waitcnt vmcnt(0) lgkmcnt(1)
	v_mul_f64 v[24:25], v[14:15], v[22:23]
	v_add_f64 v[135:136], v[54:55], -v[74:75]
	v_add_f64 v[137:138], v[54:55], v[74:75]
	v_fma_f64 v[76:77], v[12:13], v[20:21], v[24:25]
	v_mul_f64 v[12:13], v[12:13], v[22:23]
	v_mul_f64 v[156:157], v[135:136], s[6:7]
	;; [unrolled: 1-line block ×3, first 2 shown]
	v_fma_f64 v[78:79], v[14:15], v[20:21], -v[12:13]
	s_clause 0x1
	global_load_dwordx4 v[12:15], v87, s[12:13] offset:160
	global_load_dwordx4 v[20:23], v87, s[12:13] offset:176
	s_waitcnt vmcnt(1) lgkmcnt(0)
	v_mul_f64 v[24:25], v[18:19], v[14:15]
	v_mul_f64 v[14:15], v[16:17], v[14:15]
	v_fma_f64 v[87:88], v[16:17], v[12:13], v[24:25]
	v_fma_f64 v[89:90], v[18:19], v[12:13], -v[14:15]
	ds_read_b128 v[12:15], v247 offset:26112
	s_waitcnt vmcnt(0) lgkmcnt(0)
	s_barrier
	buffer_gl0_inv
	v_mul_f64 v[16:17], v[12:13], v[22:23]
	v_fma_f64 v[91:92], v[14:15], v[20:21], -v[16:17]
	v_mul_f64 v[14:15], v[14:15], v[22:23]
	v_fma_f64 v[93:94], v[12:13], v[20:21], v[14:15]
	v_add_f64 v[12:13], v[97:98], -v[91:92]
	v_add_f64 v[24:25], v[95:96], v[93:94]
	v_mul_f64 v[14:15], v[12:13], s[30:31]
	v_mul_f64 v[16:17], v[12:13], s[28:29]
	;; [unrolled: 1-line block ×6, first 2 shown]
	v_add_f64 v[38:39], v[95:96], -v[93:94]
	v_add_f64 v[95:96], v[99:100], v[95:96]
	v_fma_f64 v[26:27], v[24:25], s[16:17], v[14:15]
	v_fma_f64 v[14:15], v[24:25], s[16:17], -v[14:15]
	v_fma_f64 v[30:31], v[24:25], s[0:1], v[18:19]
	v_fma_f64 v[32:33], v[24:25], s[0:1], -v[18:19]
	v_fma_f64 v[34:35], v[24:25], s[14:15], v[20:21]
	v_fma_f64 v[109:110], v[24:25], s[36:37], v[12:13]
	v_fma_f64 v[115:116], v[24:25], s[36:37], -v[12:13]
	v_add_f64 v[12:13], v[97:98], v[91:92]
	v_fma_f64 v[103:104], v[24:25], s[14:15], -v[20:21]
	v_fma_f64 v[105:106], v[24:25], s[22:23], v[22:23]
	v_fma_f64 v[107:108], v[24:25], s[22:23], -v[22:23]
	v_fma_f64 v[28:29], v[24:25], s[8:9], v[16:17]
	v_fma_f64 v[16:17], v[24:25], s[8:9], -v[16:17]
	v_add_f64 v[97:98], v[101:102], v[97:98]
	v_add_f64 v[131:132], v[99:100], v[26:27]
	;; [unrolled: 1-line block ×4, first 2 shown]
	v_mul_f64 v[18:19], v[12:13], s[16:17]
	v_mul_f64 v[20:21], v[12:13], s[8:9]
	;; [unrolled: 1-line block ×6, first 2 shown]
	v_add_f64 v[26:27], v[99:100], v[103:104]
	v_fma_f64 v[40:41], v[38:39], s[26:27], v[18:19]
	v_fma_f64 v[18:19], v[38:39], s[30:31], v[18:19]
	;; [unrolled: 1-line block ×12, first 2 shown]
	v_add_f64 v[38:39], v[99:100], v[28:29]
	v_add_f64 v[22:23], v[99:100], v[32:33]
	v_add_f64 v[133:134], v[101:102], v[40:41]
	v_add_f64 v[12:13], v[101:102], v[18:19]
	v_add_f64 v[36:37], v[101:102], v[42:43]
	v_add_f64 v[18:19], v[99:100], v[16:17]
	v_add_f64 v[16:17], v[101:102], v[20:21]
	v_add_f64 v[42:43], v[99:100], v[30:31]
	v_add_f64 v[20:21], v[101:102], v[113:114]
	v_add_f64 v[113:114], v[99:100], v[105:106]
	v_add_f64 v[30:31], v[99:100], v[107:108]
	v_add_f64 v[105:106], v[99:100], v[109:110]
	v_add_f64 v[99:100], v[99:100], v[115:116]
	v_add_f64 v[115:116], v[46:47], -v[89:90]
	v_add_f64 v[103:104], v[101:102], v[127:128]
	v_add_f64 v[107:108], v[44:45], v[87:88]
	v_add_f64 v[127:128], v[50:51], -v[78:79]
	v_add_f64 v[40:41], v[101:102], v[111:112]
	v_add_f64 v[119:120], v[101:102], v[117:118]
	;; [unrolled: 1-line block ×8, first 2 shown]
	v_add_f64 v[109:110], v[44:45], -v[87:88]
	v_add_f64 v[129:130], v[50:51], v[78:79]
	v_add_f64 v[44:45], v[95:96], v[44:45]
	;; [unrolled: 1-line block ×3, first 2 shown]
	v_mul_f64 v[139:140], v[115:116], s[28:29]
	v_mul_f64 v[151:152], v[127:128], s[20:21]
	;; [unrolled: 1-line block ×4, first 2 shown]
	v_add_f64 v[44:45], v[44:45], v[48:49]
	v_add_f64 v[46:47], v[46:47], v[50:51]
	v_fma_f64 v[32:33], v[107:108], s[8:9], v[139:140]
	v_fma_f64 v[139:140], v[107:108], s[8:9], -v[139:140]
	v_fma_f64 v[125:126], v[123:124], s[0:1], v[151:152]
	v_fma_f64 v[34:35], v[109:110], s[24:25], v[141:142]
	v_add_f64 v[44:45], v[44:45], v[52:53]
	v_add_f64 v[46:47], v[46:47], v[54:55]
	;; [unrolled: 1-line block ×4, first 2 shown]
	v_fma_f64 v[139:140], v[109:110], s[28:29], v[141:142]
	v_add_f64 v[34:35], v[34:35], v[133:134]
	v_add_f64 v[44:45], v[44:45], v[56:57]
	v_add_f64 v[46:47], v[46:47], v[58:59]
	v_add_f64 v[32:33], v[125:126], v[32:33]
	v_add_f64 v[125:126], v[48:49], -v[76:77]
	v_add_f64 v[12:13], v[139:140], v[12:13]
	v_fma_f64 v[139:140], v[123:124], s[0:1], -v[151:152]
	v_mov_b32_e32 v48, 0xdd0
	v_mov_b32_e32 v49, 4
	v_mul_u32_u24_sdwa v48, v83, v48 dst_sel:DWORD dst_unused:UNUSED_PAD src0_sel:WORD_0 src1_sel:DWORD
	v_lshlrev_b32_sdwa v49, v49, v155 dst_sel:DWORD dst_unused:UNUSED_PAD src0_sel:DWORD src1_sel:BYTE_0
	v_add_f64 v[44:45], v[44:45], v[60:61]
	v_add_f64 v[46:47], v[46:47], v[62:63]
	v_add3_u32 v48, 0, v48, v49
	v_fma_f64 v[131:132], v[125:126], s[4:5], v[153:154]
	v_add_f64 v[14:15], v[139:140], v[14:15]
	v_fma_f64 v[139:140], v[125:126], s[20:21], v[153:154]
	v_add_f64 v[44:45], v[44:45], v[64:65]
	v_add_f64 v[46:47], v[46:47], v[66:67]
	;; [unrolled: 1-line block ×7, first 2 shown]
	v_fma_f64 v[133:134], v[131:132], s[14:15], v[156:157]
	v_fma_f64 v[139:140], v[131:132], s[14:15], -v[156:157]
	v_add_f64 v[44:45], v[44:45], v[72:73]
	v_add_f64 v[46:47], v[46:47], v[74:75]
	v_add_f64 v[32:33], v[133:134], v[32:33]
	v_add_f64 v[133:134], v[52:53], -v[72:73]
	v_add_f64 v[14:15], v[139:140], v[14:15]
	v_add_f64 v[44:45], v[44:45], v[76:77]
	v_add_f64 v[46:47], v[46:47], v[78:79]
	v_fma_f64 v[143:144], v[133:134], s[34:35], v[158:159]
	v_fma_f64 v[139:140], v[133:134], s[6:7], v[158:159]
	v_add_f64 v[44:45], v[44:45], v[87:88]
	v_add_f64 v[46:47], v[46:47], v[89:90]
	;; [unrolled: 1-line block ×7, first 2 shown]
	v_fma_f64 v[147:148], v[143:144], s[22:23], v[160:161]
	v_fma_f64 v[139:140], v[143:144], s[22:23], -v[160:161]
	v_add_f64 v[32:33], v[147:148], v[32:33]
	v_add_f64 v[147:148], v[56:57], -v[68:69]
	v_add_f64 v[14:15], v[139:140], v[14:15]
	v_fma_f64 v[164:165], v[147:148], s[38:39], v[162:163]
	v_fma_f64 v[139:140], v[147:148], s[18:19], v[162:163]
	v_add_f64 v[34:35], v[164:165], v[34:35]
	v_add_f64 v[164:165], v[62:63], -v[66:67]
	v_add_f64 v[139:140], v[139:140], v[12:13]
	v_mul_f64 v[168:169], v[164:165], s[42:43]
	v_fma_f64 v[170:171], v[166:167], s[36:37], v[168:169]
	v_fma_f64 v[12:13], v[166:167], s[36:37], -v[168:169]
	v_add_f64 v[32:33], v[170:171], v[32:33]
	v_add_f64 v[170:171], v[62:63], v[66:67]
	;; [unrolled: 1-line block ×3, first 2 shown]
	v_mul_f64 v[174:175], v[170:171], s[36:37]
	v_fma_f64 v[141:142], v[172:173], s[42:43], v[174:175]
	v_fma_f64 v[176:177], v[172:173], s[40:41], v[174:175]
	v_mul_f64 v[174:175], v[164:165], s[26:27]
	v_add_f64 v[14:15], v[141:142], v[139:140]
	v_mul_f64 v[139:140], v[115:116], s[6:7]
	v_add_f64 v[34:35], v[176:177], v[34:35]
	v_mul_f64 v[176:177], v[170:171], s[16:17]
	v_fma_f64 v[141:142], v[107:108], s[14:15], v[139:140]
	v_fma_f64 v[139:140], v[107:108], s[14:15], -v[139:140]
	v_add_f64 v[38:39], v[141:142], v[38:39]
	v_mul_f64 v[141:142], v[117:118], s[14:15]
	v_add_f64 v[18:19], v[139:140], v[18:19]
	v_fma_f64 v[151:152], v[109:110], s[34:35], v[141:142]
	v_fma_f64 v[139:140], v[109:110], s[6:7], v[141:142]
	v_fma_f64 v[141:142], v[172:173], s[26:27], v[176:177]
	v_add_f64 v[36:37], v[151:152], v[36:37]
	v_mul_f64 v[151:152], v[127:128], s[42:43]
	v_add_f64 v[16:17], v[139:140], v[16:17]
	v_fma_f64 v[153:154], v[123:124], s[36:37], v[151:152]
	v_fma_f64 v[139:140], v[123:124], s[36:37], -v[151:152]
	v_add_f64 v[38:39], v[153:154], v[38:39]
	v_mul_f64 v[153:154], v[129:130], s[36:37]
	v_add_f64 v[18:19], v[139:140], v[18:19]
	v_fma_f64 v[156:157], v[125:126], s[40:41], v[153:154]
	v_fma_f64 v[139:140], v[125:126], s[42:43], v[153:154]
	v_add_f64 v[36:37], v[156:157], v[36:37]
	v_mul_f64 v[156:157], v[135:136], s[38:39]
	v_add_f64 v[16:17], v[139:140], v[16:17]
	v_fma_f64 v[158:159], v[131:132], s[22:23], v[156:157]
	v_fma_f64 v[139:140], v[131:132], s[22:23], -v[156:157]
	v_add_f64 v[38:39], v[158:159], v[38:39]
	v_mul_f64 v[158:159], v[137:138], s[22:23]
	v_add_f64 v[18:19], v[139:140], v[18:19]
	v_fma_f64 v[160:161], v[133:134], s[18:19], v[158:159]
	v_fma_f64 v[139:140], v[133:134], s[38:39], v[158:159]
	v_add_f64 v[36:37], v[160:161], v[36:37]
	v_mul_f64 v[160:161], v[145:146], s[4:5]
	v_add_f64 v[16:17], v[139:140], v[16:17]
	v_fma_f64 v[162:163], v[143:144], s[0:1], v[160:161]
	v_fma_f64 v[139:140], v[143:144], s[0:1], -v[160:161]
	v_add_f64 v[38:39], v[162:163], v[38:39]
	v_mul_f64 v[162:163], v[149:150], s[0:1]
	v_add_f64 v[18:19], v[139:140], v[18:19]
	v_fma_f64 v[139:140], v[147:148], s[4:5], v[162:163]
	v_fma_f64 v[168:169], v[147:148], s[20:21], v[162:163]
	v_add_f64 v[139:140], v[139:140], v[16:17]
	v_fma_f64 v[16:17], v[166:167], s[16:17], -v[174:175]
	v_add_f64 v[168:169], v[168:169], v[36:37]
	v_fma_f64 v[36:37], v[166:167], s[16:17], v[174:175]
	v_mul_f64 v[174:175], v[164:165], s[18:19]
	v_add_f64 v[16:17], v[16:17], v[18:19]
	v_add_f64 v[18:19], v[141:142], v[139:140]
	v_mul_f64 v[139:140], v[115:116], s[42:43]
	v_add_f64 v[36:37], v[36:37], v[38:39]
	v_fma_f64 v[38:39], v[172:173], s[30:31], v[176:177]
	v_mul_f64 v[176:177], v[170:171], s[22:23]
	v_fma_f64 v[141:142], v[107:108], s[36:37], v[139:140]
	v_fma_f64 v[139:140], v[107:108], s[36:37], -v[139:140]
	v_add_f64 v[38:39], v[38:39], v[168:169]
	v_add_f64 v[42:43], v[141:142], v[42:43]
	v_mul_f64 v[141:142], v[117:118], s[36:37]
	v_add_f64 v[22:23], v[139:140], v[22:23]
	v_fma_f64 v[151:152], v[109:110], s[40:41], v[141:142]
	v_fma_f64 v[139:140], v[109:110], s[42:43], v[141:142]
	;; [unrolled: 1-line block ×3, first 2 shown]
	v_add_f64 v[40:41], v[151:152], v[40:41]
	v_mul_f64 v[151:152], v[127:128], s[34:35]
	v_add_f64 v[20:21], v[139:140], v[20:21]
	v_fma_f64 v[153:154], v[123:124], s[14:15], v[151:152]
	v_fma_f64 v[139:140], v[123:124], s[14:15], -v[151:152]
	v_add_f64 v[42:43], v[153:154], v[42:43]
	v_mul_f64 v[153:154], v[129:130], s[14:15]
	v_add_f64 v[22:23], v[139:140], v[22:23]
	v_fma_f64 v[156:157], v[125:126], s[6:7], v[153:154]
	v_fma_f64 v[139:140], v[125:126], s[34:35], v[153:154]
	v_add_f64 v[40:41], v[156:157], v[40:41]
	v_mul_f64 v[156:157], v[135:136], s[26:27]
	v_add_f64 v[20:21], v[139:140], v[20:21]
	v_fma_f64 v[158:159], v[131:132], s[16:17], v[156:157]
	v_fma_f64 v[139:140], v[131:132], s[16:17], -v[156:157]
	v_add_f64 v[42:43], v[158:159], v[42:43]
	v_mul_f64 v[158:159], v[137:138], s[16:17]
	v_add_f64 v[22:23], v[139:140], v[22:23]
	v_fma_f64 v[160:161], v[133:134], s[30:31], v[158:159]
	v_fma_f64 v[139:140], v[133:134], s[26:27], v[158:159]
	;; [unrolled: 10-line block ×3, first 2 shown]
	v_add_f64 v[139:140], v[139:140], v[20:21]
	v_fma_f64 v[20:21], v[166:167], s[22:23], -v[174:175]
	v_add_f64 v[168:169], v[168:169], v[40:41]
	v_fma_f64 v[40:41], v[166:167], s[22:23], v[174:175]
	v_mul_f64 v[174:175], v[164:165], s[24:25]
	v_add_f64 v[20:21], v[20:21], v[22:23]
	v_add_f64 v[22:23], v[141:142], v[139:140]
	v_mul_f64 v[139:140], v[115:116], s[38:39]
	v_add_f64 v[40:41], v[40:41], v[42:43]
	v_fma_f64 v[42:43], v[172:173], s[38:39], v[176:177]
	v_mul_f64 v[176:177], v[170:171], s[8:9]
	v_fma_f64 v[141:142], v[107:108], s[22:23], v[139:140]
	v_fma_f64 v[139:140], v[107:108], s[22:23], -v[139:140]
	v_add_f64 v[42:43], v[42:43], v[168:169]
	v_add_f64 v[121:122], v[141:142], v[121:122]
	v_mul_f64 v[141:142], v[117:118], s[22:23]
	v_add_f64 v[26:27], v[139:140], v[26:27]
	v_fma_f64 v[151:152], v[109:110], s[18:19], v[141:142]
	v_fma_f64 v[139:140], v[109:110], s[38:39], v[141:142]
	;; [unrolled: 1-line block ×3, first 2 shown]
	v_add_f64 v[119:120], v[151:152], v[119:120]
	v_mul_f64 v[151:152], v[127:128], s[26:27]
	v_add_f64 v[24:25], v[139:140], v[24:25]
	v_fma_f64 v[153:154], v[123:124], s[16:17], v[151:152]
	v_fma_f64 v[139:140], v[123:124], s[16:17], -v[151:152]
	v_add_f64 v[121:122], v[153:154], v[121:122]
	v_mul_f64 v[153:154], v[129:130], s[16:17]
	v_add_f64 v[26:27], v[139:140], v[26:27]
	v_fma_f64 v[156:157], v[125:126], s[30:31], v[153:154]
	v_fma_f64 v[139:140], v[125:126], s[26:27], v[153:154]
	v_add_f64 v[119:120], v[156:157], v[119:120]
	v_mul_f64 v[156:157], v[135:136], s[20:21]
	v_add_f64 v[24:25], v[139:140], v[24:25]
	v_fma_f64 v[158:159], v[131:132], s[0:1], v[156:157]
	v_fma_f64 v[139:140], v[131:132], s[0:1], -v[156:157]
	v_add_f64 v[121:122], v[158:159], v[121:122]
	v_mul_f64 v[158:159], v[137:138], s[0:1]
	v_add_f64 v[26:27], v[139:140], v[26:27]
	v_fma_f64 v[160:161], v[133:134], s[4:5], v[158:159]
	v_fma_f64 v[139:140], v[133:134], s[20:21], v[158:159]
	;; [unrolled: 10-line block ×3, first 2 shown]
	v_add_f64 v[139:140], v[139:140], v[24:25]
	v_fma_f64 v[24:25], v[166:167], s[8:9], -v[174:175]
	v_add_f64 v[168:169], v[168:169], v[119:120]
	v_fma_f64 v[119:120], v[166:167], s[8:9], v[174:175]
	v_mul_f64 v[174:175], v[164:165], s[6:7]
	v_add_f64 v[24:25], v[24:25], v[26:27]
	v_add_f64 v[26:27], v[141:142], v[139:140]
	v_mul_f64 v[139:140], v[115:116], s[4:5]
	v_add_f64 v[119:120], v[119:120], v[121:122]
	v_fma_f64 v[121:122], v[172:173], s[28:29], v[176:177]
	v_mul_f64 v[176:177], v[170:171], s[14:15]
	v_mul_f64 v[115:116], v[115:116], s[26:27]
	v_fma_f64 v[141:142], v[107:108], s[0:1], v[139:140]
	v_fma_f64 v[139:140], v[107:108], s[0:1], -v[139:140]
	v_add_f64 v[121:122], v[121:122], v[168:169]
	v_add_f64 v[113:114], v[141:142], v[113:114]
	v_mul_f64 v[141:142], v[117:118], s[0:1]
	v_add_f64 v[30:31], v[139:140], v[30:31]
	v_mul_f64 v[117:118], v[117:118], s[16:17]
	v_fma_f64 v[151:152], v[109:110], s[20:21], v[141:142]
	v_fma_f64 v[139:140], v[109:110], s[4:5], v[141:142]
	;; [unrolled: 1-line block ×3, first 2 shown]
	v_add_f64 v[111:112], v[151:152], v[111:112]
	v_mul_f64 v[151:152], v[127:128], s[28:29]
	v_add_f64 v[28:29], v[139:140], v[28:29]
	v_mul_f64 v[127:128], v[127:128], s[18:19]
	v_fma_f64 v[153:154], v[123:124], s[8:9], v[151:152]
	v_fma_f64 v[139:140], v[123:124], s[8:9], -v[151:152]
	v_mul_f64 v[151:152], v[170:171], s[0:1]
	v_add_f64 v[113:114], v[153:154], v[113:114]
	v_mul_f64 v[153:154], v[129:130], s[8:9]
	v_add_f64 v[30:31], v[139:140], v[30:31]
	v_mul_f64 v[129:130], v[129:130], s[22:23]
	v_fma_f64 v[156:157], v[125:126], s[24:25], v[153:154]
	v_fma_f64 v[139:140], v[125:126], s[28:29], v[153:154]
	v_add_f64 v[111:112], v[156:157], v[111:112]
	v_mul_f64 v[156:157], v[135:136], s[40:41]
	v_add_f64 v[28:29], v[139:140], v[28:29]
	v_mul_f64 v[135:136], v[135:136], s[24:25]
	v_fma_f64 v[158:159], v[131:132], s[36:37], v[156:157]
	v_fma_f64 v[139:140], v[131:132], s[36:37], -v[156:157]
	v_add_f64 v[113:114], v[158:159], v[113:114]
	v_mul_f64 v[158:159], v[137:138], s[36:37]
	v_add_f64 v[30:31], v[139:140], v[30:31]
	v_mul_f64 v[137:138], v[137:138], s[8:9]
	v_fma_f64 v[160:161], v[133:134], s[42:43], v[158:159]
	v_fma_f64 v[139:140], v[133:134], s[40:41], v[158:159]
	v_add_f64 v[111:112], v[160:161], v[111:112]
	v_mul_f64 v[160:161], v[145:146], s[26:27]
	v_add_f64 v[28:29], v[139:140], v[28:29]
	v_fma_f64 v[162:163], v[143:144], s[16:17], v[160:161]
	v_fma_f64 v[139:140], v[143:144], s[16:17], -v[160:161]
	v_add_f64 v[113:114], v[162:163], v[113:114]
	v_mul_f64 v[162:163], v[149:150], s[16:17]
	v_add_f64 v[30:31], v[139:140], v[30:31]
	v_fma_f64 v[139:140], v[147:148], s[26:27], v[162:163]
	v_fma_f64 v[168:169], v[147:148], s[30:31], v[162:163]
	v_add_f64 v[139:140], v[139:140], v[28:29]
	v_fma_f64 v[28:29], v[166:167], s[14:15], -v[174:175]
	v_add_f64 v[168:169], v[168:169], v[111:112]
	v_fma_f64 v[111:112], v[166:167], s[14:15], v[174:175]
	v_add_f64 v[28:29], v[28:29], v[30:31]
	v_add_f64 v[30:31], v[141:142], v[139:140]
	v_fma_f64 v[139:140], v[107:108], s[16:17], v[115:116]
	v_fma_f64 v[107:108], v[107:108], s[16:17], -v[115:116]
	v_fma_f64 v[115:116], v[123:124], s[22:23], -v[127:128]
	v_add_f64 v[111:112], v[111:112], v[113:114]
	v_fma_f64 v[113:114], v[172:173], s[34:35], v[176:177]
	v_add_f64 v[105:106], v[139:140], v[105:106]
	v_fma_f64 v[139:140], v[109:110], s[30:31], v[117:118]
	v_fma_f64 v[109:110], v[109:110], s[26:27], v[117:118]
	;; [unrolled: 1-line block ×3, first 2 shown]
	v_add_f64 v[99:100], v[107:108], v[99:100]
	v_fma_f64 v[107:108], v[131:132], s[8:9], -v[135:136]
	v_add_f64 v[113:114], v[113:114], v[168:169]
	v_add_f64 v[103:104], v[139:140], v[103:104]
	v_fma_f64 v[139:140], v[123:124], s[22:23], v[127:128]
	v_add_f64 v[101:102], v[109:110], v[101:102]
	v_fma_f64 v[109:110], v[133:134], s[24:25], v[137:138]
	v_add_f64 v[99:100], v[115:116], v[99:100]
	v_add_f64 v[105:106], v[139:140], v[105:106]
	v_fma_f64 v[139:140], v[125:126], s[38:39], v[129:130]
	v_add_f64 v[101:102], v[117:118], v[101:102]
	v_add_f64 v[99:100], v[107:108], v[99:100]
	;; [unrolled: 1-line block ×3, first 2 shown]
	v_fma_f64 v[139:140], v[131:132], s[8:9], v[135:136]
	v_add_f64 v[101:102], v[109:110], v[101:102]
	v_fma_f64 v[109:110], v[172:173], s[4:5], v[151:152]
	v_add_f64 v[105:106], v[139:140], v[105:106]
	;; [unrolled: 2-line block ×3, first 2 shown]
	v_mul_f64 v[139:140], v[145:146], s[6:7]
	v_fma_f64 v[141:142], v[143:144], s[14:15], v[139:140]
	v_fma_f64 v[115:116], v[143:144], s[14:15], -v[139:140]
	v_add_f64 v[105:106], v[141:142], v[105:106]
	v_mul_f64 v[141:142], v[149:150], s[14:15]
	v_mul_f64 v[149:150], v[164:165], s[4:5]
	v_add_f64 v[99:100], v[115:116], v[99:100]
	v_fma_f64 v[145:146], v[147:148], s[34:35], v[141:142]
	v_fma_f64 v[117:118], v[147:148], s[6:7], v[141:142]
	v_fma_f64 v[107:108], v[166:167], s[0:1], -v[149:150]
	v_add_f64 v[145:146], v[145:146], v[103:104]
	v_fma_f64 v[103:104], v[166:167], s[0:1], v[149:150]
	v_add_f64 v[101:102], v[117:118], v[101:102]
	v_add_f64 v[99:100], v[107:108], v[99:100]
	v_cmp_gt_u32_e64 s0, 0x55, v82
	v_add_f64 v[103:104], v[103:104], v[105:106]
	v_fma_f64 v[105:106], v[172:173], s[20:21], v[151:152]
	v_add_f64 v[101:102], v[109:110], v[101:102]
	v_add_f64 v[105:106], v[105:106], v[145:146]
	ds_write_b128 v48, v[32:35] offset:272
	ds_write_b128 v48, v[36:39] offset:544
	;; [unrolled: 1-line block ×12, first 2 shown]
	ds_write_b128 v48, v[44:47]
	s_waitcnt lgkmcnt(0)
	s_barrier
	buffer_gl0_inv
	ds_read_b128 v[32:35], v247
	ds_read_b128 v[60:63], v247 offset:3536
	ds_read_b128 v[48:51], v247 offset:7072
	;; [unrolled: 1-line block ×7, first 2 shown]
	s_and_saveexec_b32 s1, s0
	s_cbranch_execz .LBB0_25
; %bb.24:
	ds_read_b128 v[28:31], v247 offset:2176
	ds_read_b128 v[24:27], v247 offset:5712
	;; [unrolled: 1-line block ×8, first 2 shown]
.LBB0_25:
	s_or_b32 exec_lo, exec_lo, s1
	v_mul_u32_u24_e32 v64, 7, v82
	s_mov_b32 s4, 0x667f3bcd
	s_mov_b32 s5, 0xbfe6a09e
	;; [unrolled: 1-line block ×4, first 2 shown]
	v_lshlrev_b32_e32 v64, 4, v64
	v_add_co_u32 v68, s1, s12, v64
	v_add_co_ci_u32_e64 v69, null, s13, 0, s1
	v_add_co_u32 v87, s1, 0x800, v68
	v_add_co_ci_u32_e64 v88, s1, 0, v69, s1
	v_add_co_u32 v91, s1, 0xcc0, v68
	v_add_co_ci_u32_e64 v92, s1, 0, v69, s1
	;; [unrolled: 2-line block ×3, first 2 shown]
	s_clause 0x6
	global_load_dwordx4 v[64:67], v[87:88], off offset:1216
	global_load_dwordx4 v[68:71], v[91:92], off offset:16
	;; [unrolled: 1-line block ×7, first 2 shown]
	s_waitcnt vmcnt(0) lgkmcnt(0)
	s_barrier
	buffer_gl0_inv
	v_mul_f64 v[101:102], v[50:51], v[70:71]
	v_mul_f64 v[70:71], v[48:49], v[70:71]
	;; [unrolled: 1-line block ×14, first 2 shown]
	v_fma_f64 v[48:49], v[48:49], v[68:69], v[101:102]
	v_fma_f64 v[50:51], v[50:51], v[68:69], -v[70:71]
	v_fma_f64 v[52:53], v[52:53], v[72:73], v[103:104]
	v_fma_f64 v[54:55], v[54:55], v[72:73], -v[74:75]
	;; [unrolled: 2-line block ×7, first 2 shown]
	v_add_f64 v[52:53], v[32:33], -v[52:53]
	v_add_f64 v[54:55], v[34:35], -v[54:55]
	;; [unrolled: 1-line block ×8, first 2 shown]
	v_fma_f64 v[32:33], v[32:33], 2.0, -v[52:53]
	v_fma_f64 v[34:35], v[34:35], 2.0, -v[54:55]
	v_fma_f64 v[48:49], v[48:49], 2.0, -v[56:57]
	v_fma_f64 v[50:51], v[50:51], 2.0, -v[58:59]
	v_fma_f64 v[60:61], v[60:61], 2.0, -v[44:45]
	v_fma_f64 v[62:63], v[62:63], 2.0, -v[46:47]
	v_add_f64 v[58:59], v[52:53], v[58:59]
	v_add_f64 v[56:57], v[54:55], -v[56:57]
	v_fma_f64 v[36:37], v[36:37], 2.0, -v[40:41]
	v_fma_f64 v[38:39], v[38:39], 2.0, -v[42:43]
	v_add_f64 v[42:43], v[44:45], v[42:43]
	v_add_f64 v[40:41], v[46:47], -v[40:41]
	v_add_f64 v[64:65], v[32:33], -v[48:49]
	;; [unrolled: 1-line block ×3, first 2 shown]
	v_fma_f64 v[68:69], v[52:53], 2.0, -v[58:59]
	v_fma_f64 v[70:71], v[54:55], 2.0, -v[56:57]
	v_add_f64 v[36:37], v[60:61], -v[36:37]
	v_add_f64 v[38:39], v[62:63], -v[38:39]
	v_fma_f64 v[48:49], v[44:45], 2.0, -v[42:43]
	v_fma_f64 v[46:47], v[46:47], 2.0, -v[40:41]
	v_fma_f64 v[44:45], v[42:43], s[6:7], v[58:59]
	v_fma_f64 v[50:51], v[40:41], s[6:7], v[56:57]
	v_fma_f64 v[32:33], v[32:33], 2.0, -v[64:65]
	v_fma_f64 v[72:73], v[34:35], 2.0, -v[66:67]
	;; [unrolled: 1-line block ×4, first 2 shown]
	v_fma_f64 v[60:61], v[48:49], s[4:5], v[68:69]
	v_fma_f64 v[62:63], v[46:47], s[4:5], v[70:71]
	v_add_f64 v[34:35], v[64:65], v[38:39]
	v_add_f64 v[36:37], v[66:67], -v[36:37]
	v_fma_f64 v[38:39], v[40:41], s[6:7], v[44:45]
	v_fma_f64 v[40:41], v[42:43], s[4:5], v[50:51]
	v_add_f64 v[42:43], v[32:33], -v[52:53]
	v_add_f64 v[44:45], v[72:73], -v[54:55]
	v_fma_f64 v[46:47], v[46:47], s[6:7], v[60:61]
	v_fma_f64 v[48:49], v[48:49], s[4:5], v[62:63]
	v_fma_f64 v[50:51], v[64:65], 2.0, -v[34:35]
	v_fma_f64 v[52:53], v[66:67], 2.0, -v[36:37]
	;; [unrolled: 1-line block ×8, first 2 shown]
	v_mov_b32_e32 v33, 0
	ds_write_b128 v247, v[34:37] offset:21216
	ds_write_b128 v247, v[50:53] offset:7072
	;; [unrolled: 1-line block ×5, first 2 shown]
	ds_write_b128 v247, v[58:61]
	ds_write_b128 v247, v[62:65] offset:3536
	ds_write_b128 v247, v[38:41] offset:24752
	s_and_saveexec_b32 s1, s0
	s_cbranch_execz .LBB0_27
; %bb.26:
	v_add_nc_u32_e32 v32, 0xffffffab, v82
	v_cndmask_b32_e64 v32, v32, v86, s0
	v_mul_i32_i24_e32 v32, 7, v32
	v_lshlrev_b64 v[32:33], 4, v[32:33]
	v_add_co_u32 v32, s0, s12, v32
	v_add_co_ci_u32_e64 v33, s0, s13, v33, s0
	v_add_co_u32 v52, s0, 0xcc0, v32
	v_add_co_ci_u32_e64 v53, s0, 0, v33, s0
	;; [unrolled: 2-line block ×4, first 2 shown]
	s_clause 0x6
	global_load_dwordx4 v[32:35], v[52:53], off offset:48
	global_load_dwordx4 v[36:39], v[52:53], off offset:16
	;; [unrolled: 1-line block ×7, first 2 shown]
	s_waitcnt vmcnt(6)
	v_mul_f64 v[60:61], v[12:13], v[34:35]
	s_waitcnt vmcnt(5)
	v_mul_f64 v[62:63], v[22:23], v[38:39]
	;; [unrolled: 2-line block ×7, first 2 shown]
	v_mul_f64 v[46:47], v[26:27], v[46:47]
	v_mul_f64 v[38:39], v[20:21], v[38:39]
	;; [unrolled: 1-line block ×7, first 2 shown]
	v_fma_f64 v[14:15], v[14:15], v[32:33], -v[60:61]
	v_fma_f64 v[20:21], v[20:21], v[36:37], v[62:63]
	v_fma_f64 v[4:5], v[4:5], v[40:41], v[64:65]
	v_fma_f64 v[26:27], v[26:27], v[44:45], -v[66:67]
	v_fma_f64 v[10:11], v[10:11], v[48:49], -v[68:69]
	v_fma_f64 v[16:17], v[16:17], v[52:53], v[70:71]
	v_fma_f64 v[0:1], v[0:1], v[56:57], v[72:73]
	;; [unrolled: 1-line block ×3, first 2 shown]
	v_fma_f64 v[22:23], v[22:23], v[36:37], -v[38:39]
	v_fma_f64 v[6:7], v[6:7], v[40:41], -v[42:43]
	v_fma_f64 v[8:9], v[8:9], v[48:49], v[50:51]
	v_fma_f64 v[12:13], v[12:13], v[32:33], v[34:35]
	v_fma_f64 v[18:19], v[18:19], v[52:53], -v[54:55]
	v_fma_f64 v[2:3], v[2:3], v[56:57], -v[58:59]
	v_add_f64 v[14:15], v[30:31], -v[14:15]
	v_add_f64 v[4:5], v[20:21], -v[4:5]
	;; [unrolled: 1-line block ×8, first 2 shown]
	v_fma_f64 v[30:31], v[30:31], 2.0, -v[14:15]
	v_add_f64 v[32:33], v[14:15], -v[4:5]
	v_fma_f64 v[4:5], v[20:21], 2.0, -v[4:5]
	v_fma_f64 v[26:27], v[26:27], 2.0, -v[10:11]
	v_add_f64 v[34:35], v[10:11], -v[0:1]
	v_fma_f64 v[0:1], v[16:17], 2.0, -v[0:1]
	v_fma_f64 v[22:23], v[22:23], 2.0, -v[6:7]
	;; [unrolled: 1-line block ×4, first 2 shown]
	v_add_f64 v[28:29], v[12:13], v[6:7]
	v_fma_f64 v[18:19], v[18:19], 2.0, -v[2:3]
	v_add_f64 v[2:3], v[8:9], v[2:3]
	v_fma_f64 v[36:37], v[14:15], 2.0, -v[32:33]
	v_add_f64 v[20:21], v[30:31], -v[22:23]
	v_fma_f64 v[22:23], v[10:11], 2.0, -v[34:35]
	v_add_f64 v[0:1], v[24:25], -v[0:1]
	v_add_f64 v[38:39], v[16:17], -v[4:5]
	;; [unrolled: 1-line block ×3, first 2 shown]
	v_fma_f64 v[8:9], v[8:9], 2.0, -v[2:3]
	v_fma_f64 v[40:41], v[12:13], 2.0, -v[28:29]
	v_fma_f64 v[4:5], v[34:35], s[6:7], v[32:33]
	v_fma_f64 v[12:13], v[2:3], s[6:7], v[28:29]
	v_fma_f64 v[30:31], v[30:31], 2.0, -v[20:21]
	v_fma_f64 v[14:15], v[22:23], s[4:5], v[36:37]
	v_add_f64 v[6:7], v[20:21], -v[0:1]
	v_fma_f64 v[42:43], v[16:17], 2.0, -v[38:39]
	v_fma_f64 v[18:19], v[26:27], 2.0, -v[10:11]
	;; [unrolled: 1-line block ×3, first 2 shown]
	v_fma_f64 v[24:25], v[8:9], s[4:5], v[40:41]
	v_fma_f64 v[2:3], v[2:3], s[4:5], v[4:5]
	v_add_f64 v[4:5], v[38:39], v[10:11]
	v_fma_f64 v[0:1], v[34:35], s[6:7], v[12:13]
	v_fma_f64 v[10:11], v[8:9], s[4:5], v[14:15]
	v_add_f64 v[14:15], v[30:31], -v[18:19]
	v_add_f64 v[12:13], v[42:43], -v[16:17]
	v_fma_f64 v[8:9], v[22:23], s[6:7], v[24:25]
	v_fma_f64 v[22:23], v[20:21], 2.0, -v[6:7]
	v_fma_f64 v[20:21], v[38:39], 2.0, -v[4:5]
	;; [unrolled: 1-line block ×8, first 2 shown]
	ds_write_b128 v247, v[4:7] offset:23392
	ds_write_b128 v247, v[20:23] offset:9248
	;; [unrolled: 1-line block ×8, first 2 shown]
.LBB0_27:
	s_or_b32 exec_lo, exec_lo, s1
	s_waitcnt lgkmcnt(0)
	s_barrier
	buffer_gl0_inv
	s_and_saveexec_b32 s0, vcc_lo
	s_cbranch_execz .LBB0_29
; %bb.28:
	v_mul_lo_u32 v2, s3, v84
	v_mul_lo_u32 v3, s2, v85
	v_mad_u64_u32 v[0:1], null, s2, v84, 0
	v_mov_b32_e32 v83, 0
	v_lshlrev_b64 v[8:9], 4, v[80:81]
	v_lshl_add_u32 v28, v82, 4, 0
	v_add_nc_u32_e32 v10, 0x88, v82
	v_add_nc_u32_e32 v12, 0x110, v82
	v_lshlrev_b64 v[14:15], 4, v[82:83]
	v_add3_u32 v1, v1, v3, v2
	v_mov_b32_e32 v11, v83
	v_mov_b32_e32 v13, v83
	v_add_nc_u32_e32 v22, 0x198, v82
	v_mov_b32_e32 v23, v83
	v_lshlrev_b64 v[16:17], 4, v[0:1]
	ds_read_b128 v[0:3], v28
	ds_read_b128 v[4:7], v28 offset:2176
	v_add_nc_u32_e32 v24, 0x220, v82
	v_mov_b32_e32 v25, v83
	v_lshlrev_b64 v[22:23], 4, v[22:23]
	v_add_co_u32 v18, vcc_lo, s10, v16
	v_add_co_ci_u32_e32 v19, vcc_lo, s11, v17, vcc_lo
	v_lshlrev_b64 v[16:17], 4, v[10:11]
	v_add_co_u32 v30, vcc_lo, v18, v8
	v_add_co_ci_u32_e32 v31, vcc_lo, v19, v9, vcc_lo
	;; [unrolled: 3-line block ×3, first 2 shown]
	ds_read_b128 v[8:11], v28 offset:4352
	ds_read_b128 v[12:15], v28 offset:6528
	v_add_co_u32 v16, vcc_lo, v30, v16
	v_add_co_ci_u32_e32 v17, vcc_lo, v31, v17, vcc_lo
	v_add_co_u32 v18, vcc_lo, v30, v18
	v_add_co_ci_u32_e32 v19, vcc_lo, v31, v19, vcc_lo
	;; [unrolled: 2-line block ×3, first 2 shown]
	s_waitcnt lgkmcnt(3)
	global_store_dwordx4 v[20:21], v[0:3], off
	s_waitcnt lgkmcnt(2)
	global_store_dwordx4 v[16:17], v[4:7], off
	;; [unrolled: 2-line block ×4, first 2 shown]
	v_lshlrev_b64 v[0:1], 4, v[24:25]
	v_add_nc_u32_e32 v8, 0x2a8, v82
	v_mov_b32_e32 v9, v83
	v_add_nc_u32_e32 v10, 0x330, v82
	v_mov_b32_e32 v11, v83
	v_add_nc_u32_e32 v22, 0x3b8, v82
	v_add_co_u32 v16, vcc_lo, v30, v0
	v_add_co_ci_u32_e32 v17, vcc_lo, v31, v1, vcc_lo
	ds_read_b128 v[0:3], v28 offset:8704
	ds_read_b128 v[4:7], v28 offset:10880
	v_lshlrev_b64 v[18:19], 4, v[8:9]
	v_lshlrev_b64 v[20:21], 4, v[10:11]
	ds_read_b128 v[8:11], v28 offset:13056
	ds_read_b128 v[12:15], v28 offset:15232
	v_mov_b32_e32 v23, v83
	v_add_nc_u32_e32 v24, 0x440, v82
	v_add_co_u32 v18, vcc_lo, v30, v18
	v_lshlrev_b64 v[22:23], 4, v[22:23]
	v_add_co_ci_u32_e32 v19, vcc_lo, v31, v19, vcc_lo
	v_add_co_u32 v20, vcc_lo, v30, v20
	v_add_co_ci_u32_e32 v21, vcc_lo, v31, v21, vcc_lo
	v_add_co_u32 v22, vcc_lo, v30, v22
	s_waitcnt lgkmcnt(3)
	global_store_dwordx4 v[16:17], v[0:3], off
	s_waitcnt lgkmcnt(2)
	global_store_dwordx4 v[18:19], v[4:7], off
	v_add_nc_u32_e32 v2, 0x4c8, v82
	v_mov_b32_e32 v3, v83
	v_add_co_ci_u32_e32 v23, vcc_lo, v31, v23, vcc_lo
	v_lshlrev_b64 v[0:1], 4, v[24:25]
	s_waitcnt lgkmcnt(1)
	global_store_dwordx4 v[20:21], v[8:11], off
	s_waitcnt lgkmcnt(0)
	global_store_dwordx4 v[22:23], v[12:15], off
	v_lshlrev_b64 v[8:9], 4, v[2:3]
	v_add_nc_u32_e32 v10, 0x550, v82
	v_mov_b32_e32 v11, v83
	v_add_co_u32 v20, vcc_lo, v30, v0
	v_add_co_ci_u32_e32 v21, vcc_lo, v31, v1, vcc_lo
	v_add_co_u32 v22, vcc_lo, v30, v8
	ds_read_b128 v[0:3], v28 offset:17408
	ds_read_b128 v[4:7], v28 offset:19584
	v_add_co_ci_u32_e32 v23, vcc_lo, v31, v9, vcc_lo
	v_lshlrev_b64 v[26:27], 4, v[10:11]
	ds_read_b128 v[8:11], v28 offset:21760
	ds_read_b128 v[12:15], v28 offset:23936
	;; [unrolled: 1-line block ×3, first 2 shown]
	v_add_nc_u32_e32 v24, 0x5d8, v82
	v_add_nc_u32_e32 v82, 0x660, v82
	v_add_co_u32 v26, vcc_lo, v30, v26
	v_lshlrev_b64 v[24:25], 4, v[24:25]
	v_lshlrev_b64 v[28:29], 4, v[82:83]
	v_add_co_ci_u32_e32 v27, vcc_lo, v31, v27, vcc_lo
	v_add_co_u32 v24, vcc_lo, v30, v24
	v_add_co_ci_u32_e32 v25, vcc_lo, v31, v25, vcc_lo
	v_add_co_u32 v28, vcc_lo, v30, v28
	v_add_co_ci_u32_e32 v29, vcc_lo, v31, v29, vcc_lo
	s_waitcnt lgkmcnt(4)
	global_store_dwordx4 v[20:21], v[0:3], off
	s_waitcnt lgkmcnt(3)
	global_store_dwordx4 v[22:23], v[4:7], off
	;; [unrolled: 2-line block ×5, first 2 shown]
.LBB0_29:
	s_endpgm
	.section	.rodata,"a",@progbits
	.p2align	6, 0x0
	.amdhsa_kernel fft_rtc_back_len1768_factors_17_13_8_wgs_136_tpt_136_halfLds_dp_op_CI_CI_unitstride_sbrr_C2R_dirReg
		.amdhsa_group_segment_fixed_size 0
		.amdhsa_private_segment_fixed_size 0
		.amdhsa_kernarg_size 104
		.amdhsa_user_sgpr_count 6
		.amdhsa_user_sgpr_private_segment_buffer 1
		.amdhsa_user_sgpr_dispatch_ptr 0
		.amdhsa_user_sgpr_queue_ptr 0
		.amdhsa_user_sgpr_kernarg_segment_ptr 1
		.amdhsa_user_sgpr_dispatch_id 0
		.amdhsa_user_sgpr_flat_scratch_init 0
		.amdhsa_user_sgpr_private_segment_size 0
		.amdhsa_wavefront_size32 1
		.amdhsa_uses_dynamic_stack 0
		.amdhsa_system_sgpr_private_segment_wavefront_offset 0
		.amdhsa_system_sgpr_workgroup_id_x 1
		.amdhsa_system_sgpr_workgroup_id_y 0
		.amdhsa_system_sgpr_workgroup_id_z 0
		.amdhsa_system_sgpr_workgroup_info 0
		.amdhsa_system_vgpr_workitem_id 0
		.amdhsa_next_free_vgpr 256
		.amdhsa_next_free_sgpr 56
		.amdhsa_reserve_vcc 1
		.amdhsa_reserve_flat_scratch 0
		.amdhsa_float_round_mode_32 0
		.amdhsa_float_round_mode_16_64 0
		.amdhsa_float_denorm_mode_32 3
		.amdhsa_float_denorm_mode_16_64 3
		.amdhsa_dx10_clamp 1
		.amdhsa_ieee_mode 1
		.amdhsa_fp16_overflow 0
		.amdhsa_workgroup_processor_mode 1
		.amdhsa_memory_ordered 1
		.amdhsa_forward_progress 0
		.amdhsa_shared_vgpr_count 0
		.amdhsa_exception_fp_ieee_invalid_op 0
		.amdhsa_exception_fp_denorm_src 0
		.amdhsa_exception_fp_ieee_div_zero 0
		.amdhsa_exception_fp_ieee_overflow 0
		.amdhsa_exception_fp_ieee_underflow 0
		.amdhsa_exception_fp_ieee_inexact 0
		.amdhsa_exception_int_div_zero 0
	.end_amdhsa_kernel
	.text
.Lfunc_end0:
	.size	fft_rtc_back_len1768_factors_17_13_8_wgs_136_tpt_136_halfLds_dp_op_CI_CI_unitstride_sbrr_C2R_dirReg, .Lfunc_end0-fft_rtc_back_len1768_factors_17_13_8_wgs_136_tpt_136_halfLds_dp_op_CI_CI_unitstride_sbrr_C2R_dirReg
                                        ; -- End function
	.section	.AMDGPU.csdata,"",@progbits
; Kernel info:
; codeLenInByte = 17224
; NumSgprs: 58
; NumVgprs: 256
; ScratchSize: 0
; MemoryBound: 0
; FloatMode: 240
; IeeeMode: 1
; LDSByteSize: 0 bytes/workgroup (compile time only)
; SGPRBlocks: 7
; VGPRBlocks: 31
; NumSGPRsForWavesPerEU: 58
; NumVGPRsForWavesPerEU: 256
; Occupancy: 4
; WaveLimiterHint : 1
; COMPUTE_PGM_RSRC2:SCRATCH_EN: 0
; COMPUTE_PGM_RSRC2:USER_SGPR: 6
; COMPUTE_PGM_RSRC2:TRAP_HANDLER: 0
; COMPUTE_PGM_RSRC2:TGID_X_EN: 1
; COMPUTE_PGM_RSRC2:TGID_Y_EN: 0
; COMPUTE_PGM_RSRC2:TGID_Z_EN: 0
; COMPUTE_PGM_RSRC2:TIDIG_COMP_CNT: 0
	.text
	.p2alignl 6, 3214868480
	.fill 48, 4, 3214868480
	.type	__hip_cuid_bfacea7571c25c0c,@object ; @__hip_cuid_bfacea7571c25c0c
	.section	.bss,"aw",@nobits
	.globl	__hip_cuid_bfacea7571c25c0c
__hip_cuid_bfacea7571c25c0c:
	.byte	0                               ; 0x0
	.size	__hip_cuid_bfacea7571c25c0c, 1

	.ident	"AMD clang version 19.0.0git (https://github.com/RadeonOpenCompute/llvm-project roc-6.4.0 25133 c7fe45cf4b819c5991fe208aaa96edf142730f1d)"
	.section	".note.GNU-stack","",@progbits
	.addrsig
	.addrsig_sym __hip_cuid_bfacea7571c25c0c
	.amdgpu_metadata
---
amdhsa.kernels:
  - .args:
      - .actual_access:  read_only
        .address_space:  global
        .offset:         0
        .size:           8
        .value_kind:     global_buffer
      - .offset:         8
        .size:           8
        .value_kind:     by_value
      - .actual_access:  read_only
        .address_space:  global
        .offset:         16
        .size:           8
        .value_kind:     global_buffer
      - .actual_access:  read_only
        .address_space:  global
        .offset:         24
        .size:           8
        .value_kind:     global_buffer
      - .actual_access:  read_only
        .address_space:  global
        .offset:         32
        .size:           8
        .value_kind:     global_buffer
      - .offset:         40
        .size:           8
        .value_kind:     by_value
      - .actual_access:  read_only
        .address_space:  global
        .offset:         48
        .size:           8
        .value_kind:     global_buffer
      - .actual_access:  read_only
        .address_space:  global
        .offset:         56
        .size:           8
        .value_kind:     global_buffer
      - .offset:         64
        .size:           4
        .value_kind:     by_value
      - .actual_access:  read_only
        .address_space:  global
        .offset:         72
        .size:           8
        .value_kind:     global_buffer
      - .actual_access:  read_only
        .address_space:  global
        .offset:         80
        .size:           8
        .value_kind:     global_buffer
      - .actual_access:  read_only
        .address_space:  global
        .offset:         88
        .size:           8
        .value_kind:     global_buffer
      - .actual_access:  write_only
        .address_space:  global
        .offset:         96
        .size:           8
        .value_kind:     global_buffer
    .group_segment_fixed_size: 0
    .kernarg_segment_align: 8
    .kernarg_segment_size: 104
    .language:       OpenCL C
    .language_version:
      - 2
      - 0
    .max_flat_workgroup_size: 136
    .name:           fft_rtc_back_len1768_factors_17_13_8_wgs_136_tpt_136_halfLds_dp_op_CI_CI_unitstride_sbrr_C2R_dirReg
    .private_segment_fixed_size: 0
    .sgpr_count:     58
    .sgpr_spill_count: 0
    .symbol:         fft_rtc_back_len1768_factors_17_13_8_wgs_136_tpt_136_halfLds_dp_op_CI_CI_unitstride_sbrr_C2R_dirReg.kd
    .uniform_work_group_size: 1
    .uses_dynamic_stack: false
    .vgpr_count:     256
    .vgpr_spill_count: 0
    .wavefront_size: 32
    .workgroup_processor_mode: 1
amdhsa.target:   amdgcn-amd-amdhsa--gfx1030
amdhsa.version:
  - 1
  - 2
...

	.end_amdgpu_metadata
